;; amdgpu-corpus repo=ROCm/rocFFT kind=compiled arch=gfx906 opt=O3
	.text
	.amdgcn_target "amdgcn-amd-amdhsa--gfx906"
	.amdhsa_code_object_version 6
	.protected	bluestein_single_fwd_len357_dim1_sp_op_CI_CI ; -- Begin function bluestein_single_fwd_len357_dim1_sp_op_CI_CI
	.globl	bluestein_single_fwd_len357_dim1_sp_op_CI_CI
	.p2align	8
	.type	bluestein_single_fwd_len357_dim1_sp_op_CI_CI,@function
bluestein_single_fwd_len357_dim1_sp_op_CI_CI: ; @bluestein_single_fwd_len357_dim1_sp_op_CI_CI
; %bb.0:
	s_mov_b64 s[22:23], s[2:3]
	v_mul_u32_u24_e32 v1, 0xf10, v0
	s_mov_b64 s[20:21], s[0:1]
	s_load_dwordx4 s[0:3], s[4:5], 0x28
	v_lshrrev_b32_e32 v1, 16, v1
	s_add_u32 s20, s20, s7
	v_mad_u64_u32 v[126:127], s[6:7], s6, 11, v[1:2]
	v_mov_b32_e32 v127, 0
	s_addc_u32 s21, s21, 0
	s_waitcnt lgkmcnt(0)
	v_cmp_gt_u64_e32 vcc, s[0:1], v[126:127]
	s_and_saveexec_b64 s[0:1], vcc
	s_cbranch_execz .LBB0_15
; %bb.1:
	s_load_dwordx4 s[8:11], s[4:5], 0x18
	s_load_dwordx2 s[16:17], s[4:5], 0x0
	s_load_dwordx2 s[6:7], s[4:5], 0x38
	v_mul_lo_u16_e32 v1, 17, v1
	s_mov_b32 s0, 0xba2e8ba3
	s_waitcnt lgkmcnt(0)
	s_load_dwordx4 s[12:15], s[8:9], 0x0
	v_sub_u16_e32 v107, v0, v1
	v_mul_hi_u32 v3, v126, s0
	s_load_dwordx4 s[8:11], s[10:11], 0x0
	v_lshlrev_b32_e32 v72, 3, v107
	s_waitcnt lgkmcnt(0)
	v_mad_u64_u32 v[0:1], s[0:1], s14, v126, 0
	v_mad_u64_u32 v[4:5], s[0:1], s12, v107, 0
	;; [unrolled: 1-line block ×3, first 2 shown]
	v_lshrrev_b32_e32 v2, 3, v3
	v_mul_lo_u32 v6, v2, 11
	v_mov_b32_e32 v2, v5
	v_mad_u64_u32 v[2:3], s[0:1], s13, v107, v[2:3]
	v_lshlrev_b64 v[0:1], 3, v[0:1]
	v_sub_u32_e32 v3, v126, v6
	v_mul_u32_u24_e32 v73, 0x165, v3
	v_mov_b32_e32 v5, v2
	v_mov_b32_e32 v3, s3
	v_add_co_u32_e32 v2, vcc, s2, v0
	v_addc_co_u32_e32 v3, vcc, v3, v1, vcc
	v_lshlrev_b64 v[0:1], 3, v[4:5]
	s_mul_i32 s0, s13, 21
	s_mul_hi_u32 s1, s12, 21
	v_add_co_u32_e32 v0, vcc, v2, v0
	s_add_i32 s1, s1, s0
	s_mul_i32 s0, s12, 21
	v_addc_co_u32_e32 v1, vcc, v3, v1, vcc
	s_lshl_b64 s[2:3], s[0:1], 3
	v_mov_b32_e32 v36, s3
	v_add_co_u32_e32 v4, vcc, s2, v0
	v_addc_co_u32_e32 v5, vcc, v1, v36, vcc
	v_add_co_u32_e32 v6, vcc, s2, v4
	v_addc_co_u32_e32 v7, vcc, v5, v36, vcc
	;; [unrolled: 2-line block ×3, first 2 shown]
	global_load_dwordx2 v[10:11], v[0:1], off
	global_load_dwordx2 v[12:13], v[4:5], off
	global_load_dwordx2 v[14:15], v[6:7], off
	global_load_dwordx2 v[16:17], v[8:9], off
	global_load_dwordx2 v[137:138], v72, s[16:17]
	global_load_dwordx2 v[228:229], v72, s[16:17] offset:168
	global_load_dwordx2 v[116:117], v72, s[16:17] offset:336
	;; [unrolled: 1-line block ×3, first 2 shown]
	v_add_co_u32_e32 v0, vcc, s2, v8
	v_addc_co_u32_e32 v1, vcc, v9, v36, vcc
	global_load_dwordx2 v[4:5], v[0:1], off
	v_add_co_u32_e32 v0, vcc, s2, v0
	v_addc_co_u32_e32 v1, vcc, v1, v36, vcc
	global_load_dwordx2 v[6:7], v[0:1], off
	;; [unrolled: 3-line block ×4, first 2 shown]
	global_load_dwordx2 v[133:134], v72, s[16:17] offset:672
	global_load_dwordx2 v[114:115], v72, s[16:17] offset:840
	;; [unrolled: 1-line block ×4, first 2 shown]
	v_add_co_u32_e32 v0, vcc, s2, v0
	v_addc_co_u32_e32 v1, vcc, v1, v36, vcc
	global_load_dwordx2 v[20:21], v[0:1], off
	global_load_dwordx2 v[244:245], v72, s[16:17] offset:1344
	v_add_co_u32_e32 v0, vcc, s2, v0
	v_addc_co_u32_e32 v1, vcc, v1, v36, vcc
	global_load_dwordx2 v[22:23], v[0:1], off
	v_add_co_u32_e32 v0, vcc, s2, v0
	v_addc_co_u32_e32 v1, vcc, v1, v36, vcc
	global_load_dwordx2 v[24:25], v[0:1], off
	v_add_co_u32_e32 v0, vcc, s2, v0
	v_addc_co_u32_e32 v1, vcc, v1, v36, vcc
	global_load_dwordx2 v[248:249], v72, s[16:17] offset:1512
	global_load_dwordx2 v[26:27], v[0:1], off
	global_load_dwordx2 v[120:121], v72, s[16:17] offset:1680
	global_load_dwordx2 v[232:233], v72, s[16:17] offset:1848
	v_add_co_u32_e32 v0, vcc, s2, v0
	v_addc_co_u32_e32 v1, vcc, v1, v36, vcc
	global_load_dwordx2 v[28:29], v[0:1], off
	v_add_co_u32_e32 v0, vcc, s2, v0
	v_addc_co_u32_e32 v1, vcc, v1, v36, vcc
	global_load_dwordx2 v[30:31], v[0:1], off
	global_load_dwordx2 v[234:235], v72, s[16:17] offset:2016
	global_load_dwordx2 v[40:41], v72, s[16:17] offset:2184
	v_add_co_u32_e32 v0, vcc, s2, v0
	v_addc_co_u32_e32 v1, vcc, v1, v36, vcc
	global_load_dwordx2 v[32:33], v[0:1], off
	global_load_dwordx2 v[112:113], v72, s[16:17] offset:2352
	v_add_co_u32_e32 v0, vcc, s2, v0
	v_addc_co_u32_e32 v1, vcc, v1, v36, vcc
	global_load_dwordx2 v[34:35], v[0:1], off
	global_load_dwordx2 v[110:111], v72, s[16:17] offset:2520
	v_add_co_u32_e32 v0, vcc, s2, v0
	v_addc_co_u32_e32 v1, vcc, v1, v36, vcc
	v_mov_b32_e32 v38, s17
	v_add_co_u32_e32 v104, vcc, s16, v72
	v_addc_co_u32_e32 v105, vcc, 0, v38, vcc
	v_lshlrev_b32_e32 v106, 3, v73
	v_add_u32_e32 v168, v72, v106
	global_load_dwordx2 v[36:37], v[0:1], off
	global_load_dwordx2 v[108:109], v72, s[16:17] offset:2688
	v_cmp_gt_u16_e32 vcc, 4, v107
	s_waitcnt vmcnt(29)
	v_mul_f32_e32 v38, v11, v138
	v_fmac_f32_e32 v38, v10, v137
	v_mul_f32_e32 v10, v10, v138
	v_fma_f32 v39, v11, v137, -v10
	s_waitcnt vmcnt(28)
	v_mul_f32_e32 v10, v13, v229
	v_mul_f32_e32 v11, v12, v229
	v_fmac_f32_e32 v10, v12, v228
	v_fma_f32 v11, v13, v228, -v11
	ds_write2_b64 v168, v[38:39], v[10:11] offset1:21
	s_waitcnt vmcnt(27)
	v_mul_f32_e32 v10, v15, v117
	v_mul_f32_e32 v11, v14, v117
	s_waitcnt vmcnt(26)
	v_mul_f32_e32 v12, v17, v132
	v_mul_f32_e32 v13, v16, v132
	v_fmac_f32_e32 v10, v14, v116
	v_fma_f32 v11, v15, v116, -v11
	v_fmac_f32_e32 v12, v16, v131
	v_fma_f32 v13, v17, v131, -v13
	ds_write2_b64 v168, v[10:11], v[12:13] offset0:42 offset1:63
	s_waitcnt vmcnt(21)
	v_mul_f32_e32 v10, v5, v134
	v_fmac_f32_e32 v10, v4, v133
	v_mul_f32_e32 v4, v4, v134
	v_fma_f32 v11, v5, v133, -v4
	s_waitcnt vmcnt(20)
	v_mul_f32_e32 v4, v7, v115
	v_mul_f32_e32 v5, v6, v115
	v_fmac_f32_e32 v4, v6, v114
	v_fma_f32 v5, v7, v114, -v5
	ds_write2_b64 v168, v[10:11], v[4:5] offset0:84 offset1:105
	s_waitcnt vmcnt(19)
	v_mul_f32_e32 v4, v9, v251
	v_mul_f32_e32 v5, v8, v251
	s_waitcnt vmcnt(18)
	v_mul_f32_e32 v6, v19, v125
	v_mul_f32_e32 v7, v18, v125
	v_fmac_f32_e32 v4, v8, v250
	v_fma_f32 v5, v9, v250, -v5
	v_fmac_f32_e32 v6, v18, v124
	v_fma_f32 v7, v19, v124, -v7
	ds_write2_b64 v168, v[4:5], v[6:7] offset0:126 offset1:147
	s_waitcnt vmcnt(16)
	v_mul_f32_e32 v4, v21, v245
	v_mul_f32_e32 v5, v20, v245
	s_waitcnt vmcnt(13)
	v_mul_f32_e32 v6, v23, v249
	v_mul_f32_e32 v7, v22, v249
	v_fmac_f32_e32 v4, v20, v244
	v_fma_f32 v5, v21, v244, -v5
	;; [unrolled: 11-line block ×3, first 2 shown]
	v_fmac_f32_e32 v6, v26, v232
	v_fma_f32 v7, v27, v232, -v7
	ds_write2_b64 v168, v[4:5], v[6:7] offset0:210 offset1:231
	s_waitcnt vmcnt(7)
	v_mul_f32_e32 v4, v28, v235
	s_waitcnt vmcnt(6)
	v_mul_f32_e32 v7, v31, v41
	v_fma_f32 v6, v29, v234, -v4
	v_fmac_f32_e32 v7, v30, v40
	v_mul_f32_e32 v4, v30, v41
	buffer_store_dword v40, off, s[20:23], 0 ; 4-byte Folded Spill
	s_nop 0
	buffer_store_dword v41, off, s[20:23], 0 offset:4 ; 4-byte Folded Spill
	v_mul_f32_e32 v5, v29, v235
	v_fmac_f32_e32 v5, v28, v234
	v_fma_f32 v8, v31, v40, -v4
	v_add_u32_e32 v4, 0x400, v168
	ds_write2_b64 v4, v[5:6], v[7:8] offset0:124 offset1:145
	s_waitcnt vmcnt(6)
	v_mul_f32_e32 v5, v32, v113
	v_mul_f32_e32 v6, v33, v113
	v_fma_f32 v7, v33, v112, -v5
	s_waitcnt vmcnt(4)
	v_mul_f32_e32 v8, v35, v111
	v_mul_f32_e32 v5, v34, v111
	v_fmac_f32_e32 v6, v32, v112
	v_fmac_f32_e32 v8, v34, v110
	v_fma_f32 v9, v35, v110, -v5
	v_add_u32_e32 v5, 0x800, v168
	ds_write2_b64 v5, v[6:7], v[8:9] offset0:38 offset1:59
	s_waitcnt vmcnt(2)
	v_mul_f32_e32 v6, v37, v109
	v_mul_f32_e32 v7, v36, v109
	v_fmac_f32_e32 v6, v36, v108
	v_fma_f32 v7, v37, v108, -v7
	ds_write_b64 v168, v[6:7] offset:2688
	s_and_saveexec_b64 s[14:15], vcc
	s_cbranch_execz .LBB0_3
; %bb.2:
	v_mov_b32_e32 v6, 0xfffff608
	v_mad_u64_u32 v[0:1], s[0:1], s12, v6, v[0:1]
	s_mul_i32 s0, s13, 0xfffff608
	s_sub_i32 s0, s0, s12
	v_or_b32_e32 v12, 0x50, v107
	v_add_u32_e32 v1, s0, v1
	v_mad_u64_u32 v[8:9], s[0:1], s12, v12, 0
	global_load_dwordx2 v[6:7], v[0:1], off
	v_mov_b32_e32 v69, s3
	v_add_co_u32_e64 v0, s[0:1], s2, v0
	v_addc_co_u32_e64 v1, s[0:1], v1, v69, s[0:1]
	global_load_dwordx2 v[10:11], v[0:1], off
	s_mul_hi_u32 s3, s12, 0x150
	s_mul_i32 s18, s12, 0x150
	v_or_b32_e32 v29, 0xa4, v107
	s_waitcnt vmcnt(0)
	v_mad_u64_u32 v[12:13], s[0:1], s13, v12, v[9:10]
	v_add_co_u32_e64 v0, s[0:1], s2, v0
	v_addc_co_u32_e64 v1, s[0:1], v1, v69, s[0:1]
	global_load_dwordx2 v[13:14], v[0:1], off
	v_mov_b32_e32 v9, v12
	v_lshlrev_b64 v[8:9], 3, v[8:9]
	v_add_co_u32_e64 v8, s[0:1], v2, v8
	v_addc_co_u32_e64 v9, s[0:1], v3, v9, s[0:1]
	s_mul_i32 s0, s13, 0x150
	s_add_i32 s3, s3, s0
	global_load_dwordx2 v[15:16], v[8:9], off
	global_load_dwordx2 v[17:18], v[104:105], off offset:136
	global_load_dwordx2 v[19:20], v[104:105], off offset:304
	;; [unrolled: 1-line block ×4, first 2 shown]
	v_mov_b32_e32 v8, s3
	v_add_co_u32_e64 v0, s[0:1], s18, v0
	v_addc_co_u32_e64 v1, s[0:1], v1, v8, s[0:1]
	v_mad_u64_u32 v[25:26], s[0:1], s12, v29, 0
	global_load_dwordx2 v[8:9], v[0:1], off
	v_add_co_u32_e64 v0, s[0:1], s2, v0
	v_mov_b32_e32 v12, v26
	v_addc_co_u32_e64 v1, s[0:1], v1, v69, s[0:1]
	global_load_dwordx2 v[27:28], v[0:1], off
	s_waitcnt vmcnt(7)
	v_mad_u64_u32 v[29:30], s[0:1], s13, v29, v[12:13]
	v_add_co_u32_e64 v0, s[0:1], s2, v0
	v_mov_b32_e32 v26, v29
	v_lshlrev_b64 v[25:26], 3, v[25:26]
	v_addc_co_u32_e64 v1, s[0:1], v1, v69, s[0:1]
	v_add_co_u32_e64 v25, s[0:1], v2, v25
	v_addc_co_u32_e64 v26, s[0:1], v3, v26, s[0:1]
	global_load_dwordx2 v[30:31], v[0:1], off
	v_mov_b32_e32 v12, s3
	v_add_co_u32_e64 v0, s[0:1], s18, v0
	v_or_b32_e32 v29, 0xf8, v107
	v_addc_co_u32_e64 v1, s[0:1], v1, v12, s[0:1]
	v_mad_u64_u32 v[42:43], s[0:1], s12, v29, 0
	global_load_dwordx2 v[32:33], v[25:26], off
	global_load_dwordx2 v[34:35], v[104:105], off offset:808
	global_load_dwordx2 v[36:37], v[104:105], off offset:976
	;; [unrolled: 1-line block ×4, first 2 shown]
	v_mov_b32_e32 v12, v43
	global_load_dwordx2 v[25:26], v[0:1], off
	v_add_co_u32_e64 v0, s[0:1], s2, v0
	v_addc_co_u32_e64 v1, s[0:1], v1, v69, s[0:1]
	v_mad_u64_u32 v[46:47], s[0:1], s13, v29, v[12:13]
	global_load_dwordx2 v[44:45], v[0:1], off
	v_add_co_u32_e64 v0, s[0:1], s2, v0
	v_mov_b32_e32 v43, v46
	v_lshlrev_b64 v[42:43], 3, v[42:43]
	v_addc_co_u32_e64 v1, s[0:1], v1, v69, s[0:1]
	v_add_co_u32_e64 v42, s[0:1], v2, v42
	v_addc_co_u32_e64 v43, s[0:1], v3, v43, s[0:1]
	global_load_dwordx2 v[47:48], v[0:1], off
	v_mov_b32_e32 v12, s3
	v_add_co_u32_e64 v0, s[0:1], s18, v0
	v_addc_co_u32_e64 v1, s[0:1], v1, v12, s[0:1]
	global_load_dwordx2 v[49:50], v[42:43], off
	global_load_dwordx2 v[51:52], v[104:105], off offset:1480
	global_load_dwordx2 v[53:54], v[104:105], off offset:1648
	global_load_dwordx2 v[55:56], v[104:105], off offset:1816
	global_load_dwordx2 v[57:58], v[104:105], off offset:1984
	v_or_b32_e32 v29, 0x14c, v107
	global_load_dwordx2 v[42:43], v[0:1], off
	v_add_co_u32_e64 v0, s[0:1], s2, v0
	v_addc_co_u32_e64 v1, s[0:1], v1, v69, s[0:1]
	v_mad_u64_u32 v[59:60], s[0:1], s12, v29, 0
	global_load_dwordx2 v[61:62], v[0:1], off
	global_load_dwordx2 v[63:64], v[104:105], off offset:2152
	global_load_dwordx2 v[65:66], v[104:105], off offset:2320
	v_mov_b32_e32 v12, v60
	v_mad_u64_u32 v[67:68], s[0:1], s13, v29, v[12:13]
	v_add_co_u32_e64 v0, s[0:1], s2, v0
	v_mov_b32_e32 v60, v67
	v_lshlrev_b64 v[59:60], 3, v[59:60]
	v_addc_co_u32_e64 v1, s[0:1], v1, v69, s[0:1]
	v_add_co_u32_e64 v2, s[0:1], v2, v59
	v_addc_co_u32_e64 v3, s[0:1], v3, v60, s[0:1]
	global_load_dwordx2 v[68:69], v[0:1], off
	global_load_dwordx2 v[59:60], v[104:105], off offset:2488
	global_load_dwordx2 v[70:71], v[2:3], off
	global_load_dwordx2 v[74:75], v[104:105], off offset:2656
	v_mov_b32_e32 v2, s3
	v_add_co_u32_e64 v0, s[0:1], s18, v0
	v_addc_co_u32_e64 v1, s[0:1], v1, v2, s[0:1]
	global_load_dwordx2 v[2:3], v[0:1], off
	global_load_dwordx2 v[76:77], v[104:105], off offset:2824
	s_waitcnt vmcnt(29)
	v_mul_f32_e32 v0, v7, v18
	v_mul_f32_e32 v1, v6, v18
	v_fmac_f32_e32 v0, v6, v17
	v_fma_f32 v1, v7, v17, -v1
	s_waitcnt vmcnt(28)
	v_mul_f32_e32 v6, v11, v20
	v_mul_f32_e32 v7, v10, v20
	v_fmac_f32_e32 v6, v10, v19
	v_fma_f32 v7, v11, v19, -v7
	ds_write2_b64 v168, v[0:1], v[6:7] offset0:17 offset1:38
	s_waitcnt vmcnt(27)
	v_mul_f32_e32 v0, v14, v22
	v_mul_f32_e32 v1, v13, v22
	s_waitcnt vmcnt(26)
	v_mul_f32_e32 v6, v16, v24
	v_mul_f32_e32 v7, v15, v24
	v_fmac_f32_e32 v0, v13, v21
	v_fma_f32 v1, v14, v21, -v1
	v_fmac_f32_e32 v6, v15, v23
	v_fma_f32 v7, v16, v23, -v7
	ds_write2_b64 v168, v[0:1], v[6:7] offset0:59 offset1:80
	s_waitcnt vmcnt(21)
	v_mul_f32_e32 v0, v9, v35
	v_mul_f32_e32 v1, v8, v35
	s_waitcnt vmcnt(20)
	v_mul_f32_e32 v6, v28, v37
	v_mul_f32_e32 v7, v27, v37
	v_fmac_f32_e32 v0, v8, v34
	v_fma_f32 v1, v9, v34, -v1
	;; [unrolled: 11-line block ×7, first 2 shown]
	v_fmac_f32_e32 v6, v70, v74
	v_fma_f32 v7, v71, v74, -v7
	ds_write2_b64 v5, v[0:1], v[6:7] offset0:55 offset1:76
	s_waitcnt vmcnt(0)
	v_mul_f32_e32 v0, v3, v77
	v_mul_f32_e32 v1, v2, v77
	v_fmac_f32_e32 v0, v2, v76
	v_fma_f32 v1, v3, v76, -v1
	ds_write_b64 v168, v[0:1] offset:2824
.LBB0_3:
	s_or_b64 exec, exec, s[14:15]
	s_waitcnt vmcnt(0) lgkmcnt(0)
	s_barrier
	ds_read2_b64 v[60:63], v168 offset1:21
	ds_read2_b64 v[52:55], v168 offset0:42 offset1:63
	ds_read2_b64 v[44:47], v168 offset0:84 offset1:105
	;; [unrolled: 1-line block ×7, first 2 shown]
	ds_read_b64 v[68:69], v168 offset:2688
	s_load_dwordx2 s[2:3], s[4:5], 0x8
	v_mov_b32_e32 v4, 0
	v_mov_b32_e32 v5, 0
                                        ; implicit-def: $vgpr10
                                        ; implicit-def: $vgpr12
                                        ; implicit-def: $vgpr28
                                        ; implicit-def: $vgpr32
                                        ; implicit-def: $vgpr64
                                        ; implicit-def: $vgpr26
                                        ; implicit-def: $vgpr22
                                        ; implicit-def: $vgpr18
	s_and_saveexec_b64 s[0:1], vcc
	s_cbranch_execz .LBB0_5
; %bb.4:
	ds_read2_b64 v[4:7], v168 offset0:17 offset1:38
	ds_read2_b64 v[16:19], v168 offset0:59 offset1:80
	;; [unrolled: 1-line block ×6, first 2 shown]
	v_add_u32_e32 v32, 0x800, v168
	ds_read2_b64 v[28:31], v32 offset0:13 offset1:34
	ds_read2_b64 v[32:35], v32 offset0:55 offset1:76
	ds_read_b64 v[64:65], v168 offset:2824
.LBB0_5:
	s_or_b64 exec, exec, s[0:1]
	s_waitcnt lgkmcnt(0)
	v_add_f32_e32 v66, v60, v62
	v_add_f32_e32 v67, v61, v63
	;; [unrolled: 1-line block ×31, first 2 shown]
	v_sub_f32_e32 v62, v62, v68
	v_sub_f32_e32 v63, v63, v69
	v_add_f32_e32 v67, v67, v59
	v_add_f32_e32 v66, v66, v68
	v_mul_f32_e32 v68, 0xbeb8f4ab, v63
	s_mov_b32 s0, 0x3f6eb680
	v_mul_f32_e32 v74, 0xbeb8f4ab, v62
	v_mul_f32_e32 v76, 0xbf2c7751, v63
	s_mov_b32 s1, 0x3f3d2fb0
	v_mul_f32_e32 v78, 0xbf2c7751, v62
	;; [unrolled: 3-line block ×8, first 2 shown]
	v_add_f32_e32 v67, v67, v69
	v_fma_f32 v69, v70, s0, -v68
	v_mov_b32_e32 v75, v74
	v_fmac_f32_e32 v68, 0x3f6eb680, v70
	v_fma_f32 v77, v70, s1, -v76
	v_mov_b32_e32 v79, v78
	v_fmac_f32_e32 v76, 0x3f3d2fb0, v70
	;; [unrolled: 3-line block ×8, first 2 shown]
	v_add_f32_e32 v69, v60, v69
	v_fmac_f32_e32 v75, 0x3f6eb680, v71
	v_add_f32_e32 v68, v60, v68
	v_fma_f32 v74, v71, s0, -v74
	v_add_f32_e32 v77, v60, v77
	v_fmac_f32_e32 v79, 0x3f3d2fb0, v71
	v_add_f32_e32 v76, v60, v76
	v_fma_f32 v78, v71, s1, -v78
	;; [unrolled: 4-line block ×8, first 2 shown]
	v_add_f32_e32 v63, v59, v53
	v_sub_f32_e32 v53, v53, v59
	v_add_f32_e32 v75, v61, v75
	v_add_f32_e32 v74, v61, v74
	;; [unrolled: 1-line block ×17, first 2 shown]
	v_sub_f32_e32 v52, v52, v58
	v_mul_f32_e32 v58, 0xbf2c7751, v53
	v_fma_f32 v59, v62, s1, -v58
	v_add_f32_e32 v59, v59, v69
	v_mul_f32_e32 v69, 0xbf2c7751, v52
	v_fmac_f32_e32 v58, 0x3f3d2fb0, v62
	v_mov_b32_e32 v70, v69
	v_add_f32_e32 v58, v58, v68
	v_fma_f32 v68, v63, s1, -v69
	v_mul_f32_e32 v69, 0xbf7ee86f, v53
	v_fmac_f32_e32 v70, 0x3f3d2fb0, v63
	v_add_f32_e32 v68, v68, v74
	v_fma_f32 v71, v62, s5, -v69
	v_mul_f32_e32 v74, 0xbf7ee86f, v52
	v_fmac_f32_e32 v69, 0x3dbcf732, v62
	v_add_f32_e32 v70, v70, v75
	v_mov_b32_e32 v75, v74
	v_add_f32_e32 v69, v69, v76
	v_fma_f32 v74, v63, s5, -v74
	v_mul_f32_e32 v76, 0xbf4c4adb, v53
	v_add_f32_e32 v71, v71, v77
	v_fmac_f32_e32 v75, 0x3dbcf732, v63
	v_add_f32_e32 v74, v74, v78
	v_fma_f32 v77, v62, s13, -v76
	v_mul_f32_e32 v78, 0xbf4c4adb, v52
	v_fmac_f32_e32 v76, 0xbf1a4643, v62
	v_add_f32_e32 v75, v75, v79
	v_mov_b32_e32 v79, v78
	v_add_f32_e32 v76, v76, v80
	v_fma_f32 v78, v63, s13, -v78
	v_mul_f32_e32 v80, 0xbe3c28d5, v53
	v_add_f32_e32 v77, v77, v81
	;; [unrolled: 11-line block ×5, first 2 shown]
	v_add_f32_e32 v90, v90, v94
	v_fma_f32 v93, v62, s4, -v92
	v_mul_f32_e32 v94, 0x3f65296c, v52
	v_mul_f32_e32 v52, 0x3eb8f4ab, v52
	v_add_f32_e32 v93, v93, v97
	v_fmac_f32_e32 v92, 0x3ee437d1, v62
	v_mul_f32_e32 v53, 0x3eb8f4ab, v53
	v_mov_b32_e32 v97, v52
	v_fma_f32 v52, v63, s0, -v52
	v_add_f32_e32 v92, v92, v96
	v_fma_f32 v96, v62, s0, -v53
	v_fmac_f32_e32 v53, 0x3f6eb680, v62
	v_add_f32_e32 v52, v52, v61
	v_add_f32_e32 v61, v57, v55
	v_sub_f32_e32 v55, v55, v57
	v_add_f32_e32 v53, v53, v60
	v_add_f32_e32 v60, v56, v54
	v_sub_f32_e32 v54, v54, v56
	v_mul_f32_e32 v56, 0xbf65296c, v55
	v_fma_f32 v57, v60, s4, -v56
	v_fmac_f32_e32 v91, 0xbe8c1d8e, v63
	v_add_f32_e32 v57, v57, v59
	v_mul_f32_e32 v59, 0xbf65296c, v54
	v_fmac_f32_e32 v56, 0x3ee437d1, v60
	v_add_f32_e32 v91, v91, v95
	v_mov_b32_e32 v95, v94
	v_mov_b32_e32 v62, v59
	v_add_f32_e32 v56, v56, v58
	v_fma_f32 v58, v61, s4, -v59
	v_mul_f32_e32 v59, 0xbf4c4adb, v55
	v_fmac_f32_e32 v95, 0x3ee437d1, v63
	v_fma_f32 v94, v63, s4, -v94
	v_fmac_f32_e32 v97, 0x3f6eb680, v63
	v_fma_f32 v63, v60, s13, -v59
	v_fmac_f32_e32 v59, 0xbf1a4643, v60
	v_fmac_f32_e32 v62, 0x3ee437d1, v61
	v_add_f32_e32 v58, v58, v68
	v_mul_f32_e32 v68, 0xbf4c4adb, v54
	v_add_f32_e32 v59, v59, v69
	v_mul_f32_e32 v69, 0x3e3c28d5, v55
	v_add_f32_e32 v62, v62, v70
	v_add_f32_e32 v63, v63, v71
	v_mov_b32_e32 v70, v68
	v_fma_f32 v68, v61, s13, -v68
	v_fma_f32 v71, v60, s15, -v69
	v_fmac_f32_e32 v69, 0xbf7ba420, v60
	v_fmac_f32_e32 v70, 0xbf1a4643, v61
	v_add_f32_e32 v68, v68, v74
	v_mul_f32_e32 v74, 0x3e3c28d5, v54
	v_add_f32_e32 v69, v69, v76
	v_mul_f32_e32 v76, 0x3f763a35, v55
	v_add_f32_e32 v70, v70, v75
	v_add_f32_e32 v71, v71, v77
	v_mov_b32_e32 v75, v74
	v_fma_f32 v74, v61, s15, -v74
	;; [unrolled: 11-line block ×5, first 2 shown]
	v_fma_f32 v89, v60, s5, -v88
	v_fmac_f32_e32 v88, 0x3dbcf732, v60
	v_mul_f32_e32 v55, 0xbf06c442, v55
	v_add_f32_e32 v86, v86, v90
	v_mul_f32_e32 v90, 0xbf7ee86f, v54
	v_add_f32_e32 v88, v88, v92
	v_fma_f32 v92, v60, s14, -v55
	v_mul_f32_e32 v54, 0xbf06c442, v54
	v_fmac_f32_e32 v55, 0xbf59a7d5, v60
	v_add_f32_e32 v89, v89, v93
	v_mov_b32_e32 v93, v54
	v_add_f32_e32 v53, v55, v53
	v_fma_f32 v54, v61, s14, -v54
	v_add_f32_e32 v55, v51, v45
	v_sub_f32_e32 v45, v45, v51
	v_add_f32_e32 v52, v54, v52
	v_add_f32_e32 v54, v50, v44
	v_sub_f32_e32 v44, v44, v50
	v_mul_f32_e32 v50, 0xbf7ee86f, v45
	v_fma_f32 v51, v54, s5, -v50
	v_fmac_f32_e32 v87, 0x3f6eb680, v61
	v_add_f32_e32 v51, v51, v57
	v_mul_f32_e32 v57, 0xbf7ee86f, v44
	v_fmac_f32_e32 v50, 0x3dbcf732, v54
	v_add_f32_e32 v87, v87, v91
	v_mov_b32_e32 v91, v90
	v_mov_b32_e32 v60, v57
	v_add_f32_e32 v50, v50, v56
	v_fma_f32 v56, v55, s5, -v57
	v_mul_f32_e32 v57, 0xbe3c28d5, v45
	v_fmac_f32_e32 v91, 0x3dbcf732, v61
	v_fma_f32 v90, v61, s5, -v90
	v_fmac_f32_e32 v93, 0xbf59a7d5, v61
	v_fmac_f32_e32 v60, 0x3dbcf732, v55
	v_add_f32_e32 v56, v56, v58
	v_fma_f32 v58, v54, s15, -v57
	v_mul_f32_e32 v61, 0xbe3c28d5, v44
	v_fmac_f32_e32 v57, 0xbf7ba420, v54
	v_add_f32_e32 v60, v60, v62
	v_mov_b32_e32 v62, v61
	v_add_f32_e32 v57, v57, v59
	v_fma_f32 v59, v55, s15, -v61
	v_mul_f32_e32 v61, 0x3f763a35, v45
	v_add_f32_e32 v58, v58, v63
	v_fma_f32 v63, v54, s12, -v61
	v_fmac_f32_e32 v61, 0xbe8c1d8e, v54
	v_fmac_f32_e32 v62, 0xbf7ba420, v55
	v_add_f32_e32 v59, v59, v68
	v_mul_f32_e32 v68, 0x3f763a35, v44
	v_add_f32_e32 v61, v61, v69
	v_mul_f32_e32 v69, 0x3eb8f4ab, v45
	v_add_f32_e32 v62, v62, v70
	v_add_f32_e32 v63, v63, v71
	v_mov_b32_e32 v70, v68
	v_fma_f32 v68, v55, s12, -v68
	v_fma_f32 v71, v54, s0, -v69
	v_fmac_f32_e32 v69, 0x3f6eb680, v54
	v_fmac_f32_e32 v70, 0xbe8c1d8e, v55
	v_add_f32_e32 v68, v68, v74
	v_mul_f32_e32 v74, 0x3eb8f4ab, v44
	v_add_f32_e32 v69, v69, v76
	v_mul_f32_e32 v76, 0xbf65296c, v45
	v_add_f32_e32 v70, v70, v75
	v_add_f32_e32 v71, v71, v77
	v_mov_b32_e32 v75, v74
	v_fma_f32 v74, v55, s0, -v74
	;; [unrolled: 11-line block ×4, first 2 shown]
	v_fma_f32 v85, v54, s13, -v84
	v_fmac_f32_e32 v84, 0xbf1a4643, v54
	v_mul_f32_e32 v45, 0x3f2c7751, v45
	v_add_f32_e32 v82, v82, v86
	v_mul_f32_e32 v86, 0x3f4c4adb, v44
	v_add_f32_e32 v84, v84, v88
	v_fma_f32 v88, v54, s1, -v45
	v_mul_f32_e32 v44, 0x3f2c7751, v44
	v_fmac_f32_e32 v45, 0x3f3d2fb0, v54
	v_add_f32_e32 v85, v85, v89
	v_mov_b32_e32 v89, v44
	v_add_f32_e32 v45, v45, v53
	v_fma_f32 v44, v55, s1, -v44
	v_add_f32_e32 v53, v49, v47
	v_sub_f32_e32 v47, v47, v49
	v_add_f32_e32 v44, v44, v52
	v_add_f32_e32 v52, v48, v46
	v_sub_f32_e32 v46, v46, v48
	v_mul_f32_e32 v48, 0xbf763a35, v47
	v_fma_f32 v49, v52, s12, -v48
	v_fmac_f32_e32 v83, 0xbf59a7d5, v55
	v_add_f32_e32 v49, v49, v51
	v_mul_f32_e32 v51, 0xbf763a35, v46
	v_fmac_f32_e32 v48, 0xbe8c1d8e, v52
	v_add_f32_e32 v83, v83, v87
	v_mov_b32_e32 v87, v86
	v_mov_b32_e32 v54, v51
	v_add_f32_e32 v48, v48, v50
	v_fma_f32 v50, v53, s12, -v51
	v_mul_f32_e32 v51, 0x3f06c442, v47
	v_fmac_f32_e32 v87, 0xbf1a4643, v55
	v_fma_f32 v86, v55, s13, -v86
	v_fmac_f32_e32 v89, 0x3f3d2fb0, v55
	v_add_f32_e32 v50, v50, v56
	v_fma_f32 v55, v52, s14, -v51
	v_mul_f32_e32 v56, 0x3f06c442, v46
	v_fmac_f32_e32 v51, 0xbf59a7d5, v52
	v_add_f32_e32 v55, v55, v58
	v_mov_b32_e32 v58, v56
	v_add_f32_e32 v51, v51, v57
	v_fma_f32 v56, v53, s14, -v56
	v_mul_f32_e32 v57, 0x3f2c7751, v47
	v_fmac_f32_e32 v54, 0xbe8c1d8e, v53
	v_add_f32_e32 v56, v56, v59
	v_fma_f32 v59, v52, s1, -v57
	v_fmac_f32_e32 v57, 0x3f3d2fb0, v52
	v_add_f32_e32 v54, v54, v60
	v_fmac_f32_e32 v58, 0xbf59a7d5, v53
	v_mul_f32_e32 v60, 0x3f2c7751, v46
	v_add_f32_e32 v57, v57, v61
	v_mul_f32_e32 v61, 0xbf65296c, v47
	v_add_f32_e32 v58, v58, v62
	v_add_f32_e32 v59, v59, v63
	v_mov_b32_e32 v62, v60
	v_fma_f32 v60, v53, s1, -v60
	v_fma_f32 v63, v52, s4, -v61
	v_fmac_f32_e32 v61, 0x3ee437d1, v52
	v_fmac_f32_e32 v62, 0x3f3d2fb0, v53
	v_add_f32_e32 v60, v60, v68
	v_mul_f32_e32 v68, 0xbf65296c, v46
	v_add_f32_e32 v61, v61, v69
	v_mul_f32_e32 v69, 0xbe3c28d5, v47
	v_add_f32_e32 v62, v62, v70
	v_add_f32_e32 v63, v63, v71
	v_mov_b32_e32 v70, v68
	v_fma_f32 v68, v53, s4, -v68
	v_fma_f32 v71, v52, s15, -v69
	v_fmac_f32_e32 v69, 0xbf7ba420, v52
	v_fmac_f32_e32 v70, 0x3ee437d1, v53
	v_add_f32_e32 v68, v68, v74
	;; [unrolled: 11-line block ×3, first 2 shown]
	v_mul_f32_e32 v78, 0x3f7ee86f, v46
	v_add_f32_e32 v76, v76, v80
	v_mul_f32_e32 v80, 0xbeb8f4ab, v47
	v_add_f32_e32 v75, v75, v79
	v_add_f32_e32 v77, v77, v81
	v_mov_b32_e32 v79, v78
	v_fma_f32 v78, v53, s5, -v78
	v_fma_f32 v81, v52, s0, -v80
	v_fmac_f32_e32 v80, 0x3f6eb680, v52
	v_mul_f32_e32 v47, 0xbf4c4adb, v47
	v_add_f32_e32 v78, v78, v82
	v_mul_f32_e32 v82, 0xbeb8f4ab, v46
	v_add_f32_e32 v80, v80, v84
	v_fma_f32 v84, v52, s13, -v47
	v_mul_f32_e32 v46, 0xbf4c4adb, v46
	v_fmac_f32_e32 v47, 0xbf1a4643, v52
	v_add_f32_e32 v81, v81, v85
	v_mov_b32_e32 v85, v46
	v_add_f32_e32 v45, v47, v45
	v_fma_f32 v46, v53, s13, -v46
	v_add_f32_e32 v47, v43, v37
	v_sub_f32_e32 v37, v37, v43
	v_add_f32_e32 v44, v46, v44
	v_add_f32_e32 v46, v42, v36
	v_sub_f32_e32 v36, v36, v42
	v_mul_f32_e32 v42, 0xbf4c4adb, v37
	v_fma_f32 v43, v46, s13, -v42
	v_fmac_f32_e32 v79, 0x3dbcf732, v53
	v_add_f32_e32 v43, v43, v49
	v_mul_f32_e32 v49, 0xbf4c4adb, v36
	v_fmac_f32_e32 v42, 0xbf1a4643, v46
	v_add_f32_e32 v79, v79, v83
	v_mov_b32_e32 v83, v82
	v_mov_b32_e32 v52, v49
	v_add_f32_e32 v42, v42, v48
	v_fma_f32 v48, v47, s13, -v49
	v_mul_f32_e32 v49, 0x3f763a35, v37
	v_fmac_f32_e32 v83, 0x3f6eb680, v53
	v_fma_f32 v82, v53, s0, -v82
	v_fmac_f32_e32 v85, 0xbf1a4643, v53
	v_fmac_f32_e32 v52, 0xbf1a4643, v47
	v_add_f32_e32 v48, v48, v50
	v_fma_f32 v50, v46, s12, -v49
	v_mul_f32_e32 v53, 0x3f763a35, v36
	v_fmac_f32_e32 v49, 0xbe8c1d8e, v46
	v_add_f32_e32 v52, v52, v54
	v_mov_b32_e32 v54, v53
	v_add_f32_e32 v49, v49, v51
	v_fma_f32 v51, v47, s12, -v53
	v_mul_f32_e32 v53, 0xbeb8f4ab, v37
	v_add_f32_e32 v50, v50, v55
	v_fma_f32 v55, v46, s0, -v53
	v_fmac_f32_e32 v53, 0x3f6eb680, v46
	v_fmac_f32_e32 v54, 0xbe8c1d8e, v47
	v_add_f32_e32 v51, v51, v56
	v_mul_f32_e32 v56, 0xbeb8f4ab, v36
	v_add_f32_e32 v53, v53, v57
	v_mul_f32_e32 v57, 0xbf06c442, v37
	v_add_f32_e32 v54, v54, v58
	v_add_f32_e32 v55, v55, v59
	v_mov_b32_e32 v58, v56
	v_fma_f32 v56, v47, s0, -v56
	v_fma_f32 v59, v46, s14, -v57
	v_fmac_f32_e32 v57, 0xbf59a7d5, v46
	v_fmac_f32_e32 v58, 0x3f6eb680, v47
	v_add_f32_e32 v56, v56, v60
	v_mul_f32_e32 v60, 0xbf06c442, v36
	v_add_f32_e32 v57, v57, v61
	v_mul_f32_e32 v61, 0x3f7ee86f, v37
	v_add_f32_e32 v58, v58, v62
	v_add_f32_e32 v59, v59, v63
	v_mov_b32_e32 v62, v60
	v_fma_f32 v60, v47, s14, -v60
	v_fma_f32 v63, v46, s5, -v61
	v_fmac_f32_e32 v61, 0x3dbcf732, v46
	v_fmac_f32_e32 v62, 0xbf59a7d5, v47
	v_add_f32_e32 v60, v60, v68
	v_mul_f32_e32 v68, 0x3f7ee86f, v36
	v_add_f32_e32 v61, v61, v69
	v_mul_f32_e32 v69, 0xbf2c7751, v37
	v_add_f32_e32 v62, v62, v70
	v_add_f32_e32 v63, v63, v71
	v_mov_b32_e32 v70, v68
	v_fma_f32 v68, v47, s5, -v68
	v_fma_f32 v71, v46, s1, -v69
	v_fmac_f32_e32 v69, 0x3f3d2fb0, v46
	v_fmac_f32_e32 v70, 0x3dbcf732, v47
	v_add_f32_e32 v68, v68, v74
	v_mul_f32_e32 v74, 0xbf2c7751, v36
	v_add_f32_e32 v69, v69, v76
	v_mul_f32_e32 v76, 0xbe3c28d5, v37
	v_add_f32_e32 v70, v70, v75
	v_add_f32_e32 v71, v71, v77
	v_mov_b32_e32 v75, v74
	v_fma_f32 v74, v47, s1, -v74
	v_fma_f32 v77, v46, s15, -v76
	v_fmac_f32_e32 v76, 0xbf7ba420, v46
	v_mul_f32_e32 v37, 0x3f65296c, v37
	v_add_f32_e32 v74, v74, v78
	v_mul_f32_e32 v78, 0xbe3c28d5, v36
	v_add_f32_e32 v76, v76, v80
	v_fma_f32 v80, v46, s4, -v37
	v_mul_f32_e32 v36, 0x3f65296c, v36
	v_fmac_f32_e32 v37, 0x3ee437d1, v46
	v_add_f32_e32 v77, v77, v81
	v_mov_b32_e32 v81, v36
	v_add_f32_e32 v37, v37, v45
	v_fma_f32 v36, v47, s4, -v36
	v_add_f32_e32 v45, v41, v39
	v_sub_f32_e32 v39, v39, v41
	v_add_f32_e32 v36, v36, v44
	v_add_f32_e32 v44, v40, v38
	v_sub_f32_e32 v38, v38, v40
	v_mul_f32_e32 v40, 0xbf06c442, v39
	v_fma_f32 v41, v44, s14, -v40
	v_fmac_f32_e32 v75, 0x3f3d2fb0, v47
	v_add_f32_e32 v41, v41, v43
	v_mul_f32_e32 v43, 0xbf06c442, v38
	v_fmac_f32_e32 v40, 0xbf59a7d5, v44
	v_add_f32_e32 v75, v75, v79
	v_mov_b32_e32 v79, v78
	v_mov_b32_e32 v46, v43
	v_add_f32_e32 v40, v40, v42
	v_fma_f32 v42, v45, s14, -v43
	v_mul_f32_e32 v43, 0x3f65296c, v39
	v_fmac_f32_e32 v79, 0xbf7ba420, v47
	v_fma_f32 v78, v47, s15, -v78
	v_fmac_f32_e32 v81, 0x3ee437d1, v47
	v_add_f32_e32 v42, v42, v48
	v_fma_f32 v47, v44, s4, -v43
	v_mul_f32_e32 v48, 0x3f65296c, v38
	v_fmac_f32_e32 v43, 0x3ee437d1, v44
	v_fmac_f32_e32 v46, 0xbf59a7d5, v45
	v_add_f32_e32 v47, v47, v50
	v_mov_b32_e32 v50, v48
	v_add_f32_e32 v43, v43, v49
	v_fma_f32 v48, v45, s4, -v48
	v_mul_f32_e32 v49, 0xbf7ee86f, v39
	v_add_f32_e32 v46, v46, v52
	v_add_f32_e32 v48, v48, v51
	v_fma_f32 v51, v44, s5, -v49
	v_mul_f32_e32 v52, 0xbf7ee86f, v38
	v_fmac_f32_e32 v49, 0x3dbcf732, v44
	v_fmac_f32_e32 v50, 0x3ee437d1, v45
	v_add_f32_e32 v51, v51, v55
	v_add_f32_e32 v55, v49, v53
	v_fma_f32 v49, v45, s5, -v52
	v_add_f32_e32 v50, v50, v54
	v_mov_b32_e32 v54, v52
	v_add_f32_e32 v56, v49, v56
	v_mul_f32_e32 v49, 0x3f4c4adb, v39
	v_fmac_f32_e32 v54, 0x3dbcf732, v45
	v_fma_f32 v52, v44, s13, -v49
	v_add_f32_e32 v54, v54, v58
	v_add_f32_e32 v58, v52, v59
	v_mul_f32_e32 v52, 0x3f4c4adb, v38
	v_fmac_f32_e32 v49, 0xbf1a4643, v44
	v_add_f32_e32 v57, v49, v57
	v_fma_f32 v49, v45, s13, -v52
	v_mov_b32_e32 v53, v52
	v_add_f32_e32 v60, v49, v60
	v_mul_f32_e32 v49, 0xbeb8f4ab, v39
	v_fmac_f32_e32 v53, 0xbf1a4643, v45
	v_fma_f32 v52, v44, s0, -v49
	v_add_f32_e32 v59, v53, v62
	v_add_f32_e32 v62, v52, v63
	v_mul_f32_e32 v52, 0xbeb8f4ab, v38
	v_fmac_f32_e32 v49, 0x3f6eb680, v44
	v_add_f32_e32 v61, v49, v61
	v_fma_f32 v49, v45, s0, -v52
	v_mov_b32_e32 v53, v52
	v_add_f32_e32 v68, v49, v68
	v_mul_f32_e32 v49, 0xbe3c28d5, v39
	v_fmac_f32_e32 v53, 0x3f6eb680, v45
	v_fma_f32 v52, v44, s15, -v49
	v_add_f32_e32 v63, v53, v70
	v_add_f32_e32 v70, v52, v71
	v_mul_f32_e32 v52, 0xbe3c28d5, v38
	v_fmac_f32_e32 v49, 0xbf7ba420, v44
	v_add_f32_e32 v94, v94, v98
	v_add_f32_e32 v69, v49, v69
	v_fma_f32 v49, v45, s15, -v52
	v_add_f32_e32 v95, v95, v99
	v_add_f32_e32 v96, v96, v100
	;; [unrolled: 1-line block ×3, first 2 shown]
	v_mov_b32_e32 v53, v52
	v_add_f32_e32 v74, v49, v74
	v_mul_f32_e32 v49, 0x3f2c7751, v39
	v_add_f32_e32 v97, v97, v101
	v_add_f32_e32 v91, v91, v95
	;; [unrolled: 1-line block ×4, first 2 shown]
	v_fmac_f32_e32 v53, 0xbf7ba420, v45
	v_fma_f32 v52, v44, s1, -v49
	v_add_f32_e32 v93, v93, v97
	v_add_f32_e32 v87, v87, v91
	;; [unrolled: 1-line block ×6, first 2 shown]
	v_mul_f32_e32 v52, 0x3f2c7751, v38
	v_fmac_f32_e32 v49, 0x3f3d2fb0, v44
	v_add_f32_e32 v89, v89, v93
	v_add_f32_e32 v83, v83, v87
	;; [unrolled: 1-line block ×4, first 2 shown]
	v_mov_b32_e32 v53, v52
	v_add_f32_e32 v76, v49, v76
	v_fma_f32 v49, v45, s1, -v52
	v_mul_f32_e32 v39, 0xbf763a35, v39
	v_add_f32_e32 v85, v85, v89
	v_add_f32_e32 v79, v79, v83
	;; [unrolled: 1-line block ×3, first 2 shown]
	v_fmac_f32_e32 v53, 0x3f3d2fb0, v45
	v_add_f32_e32 v78, v49, v78
	v_fma_f32 v49, v44, s12, -v39
	v_mul_f32_e32 v38, 0xbf763a35, v38
	v_sub_f32_e32 v86, v1, v3
	v_add_f32_e32 v81, v81, v85
	v_add_f32_e32 v77, v53, v79
	;; [unrolled: 1-line block ×3, first 2 shown]
	v_mov_b32_e32 v49, v38
	v_add_f32_e32 v83, v2, v0
	v_sub_f32_e32 v85, v0, v2
	v_mul_f32_e32 v0, 0xbe3c28d5, v86
	v_fmac_f32_e32 v49, 0xbe8c1d8e, v45
	v_fmac_f32_e32 v39, 0xbe8c1d8e, v44
	v_add_f32_e32 v84, v3, v1
	v_fma_f32 v1, v83, s15, -v0
	v_add_f32_e32 v80, v49, v81
	v_add_f32_e32 v81, v39, v37
	v_fma_f32 v37, v45, s12, -v38
	v_add_f32_e32 v52, v1, v41
	v_mul_f32_e32 v1, 0xbe3c28d5, v85
	v_fmac_f32_e32 v0, 0xbf7ba420, v83
	v_add_f32_e32 v82, v37, v36
	v_add_f32_e32 v36, v0, v40
	v_fma_f32 v0, v84, s15, -v1
	v_add_f32_e32 v37, v0, v42
	v_mul_f32_e32 v0, 0x3eb8f4ab, v86
	v_mov_b32_e32 v2, v1
	v_fma_f32 v1, v83, s0, -v0
	v_fmac_f32_e32 v2, 0xbf7ba420, v84
	v_add_f32_e32 v44, v1, v47
	v_mul_f32_e32 v1, 0x3eb8f4ab, v85
	v_add_f32_e32 v53, v2, v46
	v_mov_b32_e32 v2, v1
	v_fmac_f32_e32 v2, 0x3f6eb680, v84
	v_add_f32_e32 v45, v2, v50
	v_mul_f32_e32 v2, 0xbf06c442, v86
	v_fma_f32 v1, v84, s0, -v1
	v_fma_f32 v3, v83, s14, -v2
	v_add_f32_e32 v1, v1, v48
	v_add_f32_e32 v48, v3, v51
	v_mul_f32_e32 v3, 0xbf06c442, v85
	v_mov_b32_e32 v38, v3
	v_fmac_f32_e32 v38, 0xbf59a7d5, v84
	v_fmac_f32_e32 v2, 0xbf59a7d5, v83
	v_add_f32_e32 v49, v38, v54
	v_add_f32_e32 v38, v2, v55
	v_fma_f32 v2, v84, s14, -v3
	v_add_f32_e32 v39, v2, v56
	v_mul_f32_e32 v2, 0x3f2c7751, v86
	v_fma_f32 v3, v83, s1, -v2
	v_add_f32_e32 v50, v3, v58
	v_mul_f32_e32 v3, 0x3f2c7751, v85
	v_mov_b32_e32 v40, v3
	v_fmac_f32_e32 v40, 0x3f3d2fb0, v84
	v_add_f32_e32 v51, v40, v59
	v_mul_f32_e32 v40, 0xbf4c4adb, v86
	v_fma_f32 v41, v83, s13, -v40
	v_add_f32_e32 v56, v41, v62
	v_mul_f32_e32 v41, 0xbf4c4adb, v85
	v_mov_b32_e32 v42, v41
	v_fmac_f32_e32 v2, 0x3f3d2fb0, v83
	v_fmac_f32_e32 v42, 0xbf1a4643, v84
	;; [unrolled: 1-line block ×3, first 2 shown]
	v_add_f32_e32 v2, v2, v57
	v_add_f32_e32 v57, v42, v63
	v_mul_f32_e32 v42, 0x3f65296c, v86
	v_add_f32_e32 v0, v0, v43
	v_fma_f32 v43, v83, s4, -v42
	v_add_f32_e32 v54, v43, v70
	v_mul_f32_e32 v43, 0x3f65296c, v85
	v_mov_b32_e32 v46, v43
	v_fmac_f32_e32 v40, 0xbf1a4643, v83
	v_fmac_f32_e32 v46, 0x3ee437d1, v84
	v_mul_f32_e32 v63, 0x3f7ee86f, v85
	v_add_f32_e32 v40, v40, v61
	v_add_f32_e32 v55, v46, v71
	v_fma_f32 v43, v84, s4, -v43
	v_mul_f32_e32 v46, 0xbf763a35, v86
	v_mov_b32_e32 v61, v63
	v_sub_f32_e32 v93, v7, v65
	v_fma_f32 v3, v84, s1, -v3
	v_add_f32_e32 v43, v43, v74
	v_fma_f32 v47, v83, s12, -v46
	v_fmac_f32_e32 v46, 0xbe8c1d8e, v83
	v_mul_f32_e32 v62, 0x3f7ee86f, v86
	v_fmac_f32_e32 v61, 0x3dbcf732, v84
	v_mul_f32_e32 v74, 0xbf2c7751, v93
	v_add_f32_e32 v3, v3, v60
	v_add_f32_e32 v58, v47, v75
	v_mul_f32_e32 v47, 0xbf763a35, v85
	v_add_f32_e32 v46, v46, v76
	v_fma_f32 v60, v83, s5, -v62
	v_add_f32_e32 v61, v61, v80
	v_fmac_f32_e32 v62, 0x3dbcf732, v83
	v_add_f32_e32 v80, v64, v6
	v_sub_f32_e32 v91, v6, v64
	v_mov_b32_e32 v76, v74
	v_mov_b32_e32 v59, v47
	v_add_f32_e32 v62, v62, v81
	v_add_f32_e32 v81, v65, v7
	v_mul_f32_e32 v75, 0xbf2c7751, v91
	v_fmac_f32_e32 v76, 0x3f3d2fb0, v80
	v_fma_f32 v41, v84, s13, -v41
	v_fmac_f32_e32 v59, 0xbe8c1d8e, v84
	v_fma_f32 v47, v84, s12, -v47
	v_fma_f32 v63, v84, s5, -v63
	v_add_f32_e32 v84, v76, v4
	v_fma_f32 v76, v81, s1, -v75
	v_add_f32_e32 v85, v76, v5
	v_mul_f32_e32 v76, 0xbf65296c, v93
	v_add_f32_e32 v59, v59, v77
	v_mov_b32_e32 v77, v76
	v_add_f32_e32 v47, v47, v78
	v_mul_f32_e32 v78, 0xbf65296c, v91
	v_fmac_f32_e32 v77, 0x3ee437d1, v80
	v_add_f32_e32 v41, v41, v68
	v_mul_f32_e32 v68, 0xbeb8f4ab, v93
	v_add_f32_e32 v87, v77, v4
	v_fma_f32 v77, v81, s4, -v78
	v_sub_f32_e32 v101, v17, v35
	v_fmac_f32_e32 v42, 0x3ee437d1, v83
	v_mov_b32_e32 v70, v68
	v_add_f32_e32 v90, v77, v5
	v_mul_f32_e32 v77, 0xbf2c7751, v101
	v_add_f32_e32 v42, v42, v69
	v_add_f32_e32 v63, v63, v82
	v_mul_f32_e32 v69, 0xbeb8f4ab, v91
	v_fmac_f32_e32 v70, 0x3f6eb680, v80
	v_add_f32_e32 v88, v34, v16
	v_sub_f32_e32 v99, v16, v34
	v_mov_b32_e32 v82, v77
	v_add_f32_e32 v60, v60, v79
	v_add_f32_e32 v70, v70, v4
	v_fma_f32 v71, v81, s0, -v69
	v_add_f32_e32 v89, v35, v17
	v_mul_f32_e32 v79, 0xbf2c7751, v99
	v_fmac_f32_e32 v82, 0x3f3d2fb0, v88
	v_add_f32_e32 v71, v71, v5
	v_add_f32_e32 v92, v82, v70
	v_fma_f32 v70, v89, s1, -v79
	v_mul_f32_e32 v82, 0xbf7ee86f, v101
	v_add_f32_e32 v94, v70, v71
	v_mov_b32_e32 v70, v82
	v_mul_f32_e32 v83, 0xbf7ee86f, v99
	v_fmac_f32_e32 v70, 0x3dbcf732, v88
	v_add_f32_e32 v95, v70, v84
	v_fma_f32 v70, v89, s5, -v83
	v_mul_f32_e32 v84, 0xbf4c4adb, v101
	v_add_f32_e32 v98, v70, v85
	v_mov_b32_e32 v70, v84
	v_mul_f32_e32 v86, 0xbf4c4adb, v99
	v_fmac_f32_e32 v70, 0xbf1a4643, v88
	v_sub_f32_e32 v158, v19, v33
	v_add_f32_e32 v71, v70, v87
	v_fma_f32 v70, v89, s13, -v86
	v_mul_f32_e32 v85, 0xbf65296c, v158
	v_add_f32_e32 v70, v70, v90
	v_add_f32_e32 v96, v32, v18
	v_sub_f32_e32 v157, v18, v32
	v_mov_b32_e32 v90, v85
	v_add_f32_e32 v97, v33, v19
	v_mul_f32_e32 v87, 0xbf65296c, v157
	v_fmac_f32_e32 v90, 0x3ee437d1, v96
	v_add_f32_e32 v100, v90, v92
	v_fma_f32 v90, v97, s4, -v87
	v_add_f32_e32 v141, v90, v94
	v_mul_f32_e32 v90, 0xbf4c4adb, v158
	v_mov_b32_e32 v94, v90
	v_mul_f32_e32 v92, 0xbf4c4adb, v157
	v_fmac_f32_e32 v94, 0xbf1a4643, v96
	v_add_f32_e32 v142, v94, v95
	v_fma_f32 v94, v97, s13, -v92
	v_sub_f32_e32 v160, v21, v31
	v_add_f32_e32 v143, v94, v98
	v_mul_f32_e32 v94, 0xbf7ee86f, v160
	v_add_f32_e32 v102, v30, v20
	v_sub_f32_e32 v159, v20, v30
	v_mov_b32_e32 v98, v94
	v_add_f32_e32 v103, v31, v21
	v_mul_f32_e32 v95, 0xbf7ee86f, v159
	v_fmac_f32_e32 v98, 0x3dbcf732, v102
	v_add_f32_e32 v144, v98, v100
	v_fma_f32 v98, v103, s5, -v95
	v_add_f32_e32 v141, v98, v141
	v_mul_f32_e32 v98, 0xbe3c28d5, v160
	v_mov_b32_e32 v145, v98
	v_mul_f32_e32 v100, 0xbe3c28d5, v159
	v_fmac_f32_e32 v145, 0xbf7ba420, v102
	v_add_f32_e32 v142, v145, v142
	v_fma_f32 v145, v103, s15, -v100
	v_add_f32_e32 v143, v145, v143
	v_mul_lo_u16_e32 v145, 17, v107
	v_sub_f32_e32 v164, v23, v29
	v_lshl_add_u32 v176, v145, 3, v106
	s_barrier
	ds_write2_b64 v176, v[66:67], v[52:53] offset1:1
	v_mul_f32_e32 v52, 0xbf763a35, v164
	v_add_f32_e32 v161, v28, v22
	v_sub_f32_e32 v163, v22, v28
	v_mov_b32_e32 v66, v52
	v_add_f32_e32 v162, v29, v23
	v_mul_f32_e32 v53, 0xbf763a35, v163
	v_fmac_f32_e32 v66, 0xbe8c1d8e, v161
	v_sub_f32_e32 v174, v25, v15
	v_add_f32_e32 v144, v66, v144
	v_fma_f32 v66, v162, s12, -v53
	ds_write2_b64 v176, v[44:45], v[48:49] offset0:2 offset1:3
	v_mul_f32_e32 v44, 0xbf4c4adb, v174
	v_add_f32_e32 v141, v66, v141
	v_mul_f32_e32 v66, 0x3f06c442, v164
	v_add_f32_e32 v165, v14, v24
	v_sub_f32_e32 v170, v24, v14
	v_mov_b32_e32 v48, v44
	v_mov_b32_e32 v67, v66
	v_add_f32_e32 v166, v15, v25
	v_mul_f32_e32 v45, 0xbf4c4adb, v170
	v_fmac_f32_e32 v48, 0xbf1a4643, v165
	v_fmac_f32_e32 v67, 0xbf59a7d5, v161
	ds_write2_b64 v176, v[50:51], v[56:57] offset0:4 offset1:5
	v_add_f32_e32 v56, v48, v144
	v_fma_f32 v48, v166, s13, -v45
	v_mul_f32_e32 v49, 0x3f763a35, v174
	v_add_f32_e32 v142, v67, v142
	v_mul_f32_e32 v67, 0x3f06c442, v163
	v_add_f32_e32 v57, v48, v141
	v_mov_b32_e32 v48, v49
	v_fma_f32 v145, v162, s14, -v67
	v_fmac_f32_e32 v48, 0xbe8c1d8e, v165
	v_mul_f32_e32 v51, 0x3f763a35, v170
	v_add_f32_e32 v143, v145, v143
	v_add_f32_e32 v141, v48, v142
	v_fma_f32 v48, v166, s12, -v51
	v_sub_f32_e32 v178, v27, v13
	v_add_f32_e32 v142, v48, v143
	v_mul_f32_e32 v48, 0xbf06c442, v178
	ds_write2_b64 v176, v[54:55], v[58:59] offset0:6 offset1:7
	v_add_f32_e32 v54, v12, v26
	v_sub_f32_e32 v177, v26, v12
	v_mov_b32_e32 v58, v48
	ds_write2_b64 v176, v[40:41], v[2:3] offset0:12 offset1:13
	v_mul_f32_e32 v40, 0x3f65296c, v178
	v_add_f32_e32 v55, v13, v27
	v_mul_f32_e32 v50, 0xbf06c442, v177
	v_fmac_f32_e32 v58, 0xbf59a7d5, v54
	v_sub_f32_e32 v180, v9, v11
	v_mov_b32_e32 v41, v40
	v_add_f32_e32 v58, v58, v56
	v_fma_f32 v56, v55, s14, -v50
	v_fmac_f32_e32 v41, 0x3ee437d1, v54
	ds_write2_b64 v176, v[38:39], v[0:1] offset0:14 offset1:15
	v_mul_f32_e32 v38, 0x3eb8f4ab, v180
	v_add_f32_e32 v59, v56, v57
	v_add_f32_e32 v56, v10, v8
	ds_write2_b64 v176, v[46:47], v[42:43] offset0:10 offset1:11
	v_sub_f32_e32 v179, v8, v10
	v_add_f32_e32 v46, v41, v141
	v_mul_f32_e32 v41, 0x3f65296c, v177
	v_mov_b32_e32 v0, v38
	v_add_f32_e32 v57, v11, v9
	v_fma_f32 v47, v55, s4, -v41
	v_mul_f32_e32 v39, 0x3eb8f4ab, v179
	v_fmac_f32_e32 v0, 0x3f6eb680, v56
	v_mul_f32_e32 v42, 0xbe3c28d5, v180
	v_add_f32_e32 v47, v47, v142
	v_add_f32_e32 v0, v0, v46
	v_fma_f32 v1, v57, s0, -v39
	v_mul_f32_e32 v46, 0x3e3c28d5, v158
	v_mov_b32_e32 v2, v42
	v_add_f32_e32 v1, v1, v47
	v_mov_b32_e32 v47, v46
	ds_write2_b64 v176, v[60:61], v[62:63] offset0:8 offset1:9
	v_mul_f32_e32 v43, 0xbe3c28d5, v179
	v_fmac_f32_e32 v2, 0xbf7ba420, v56
	v_fmac_f32_e32 v47, 0xbf7ba420, v96
	v_mul_f32_e32 v60, 0x3e3c28d5, v157
	v_add_f32_e32 v2, v2, v58
	v_fma_f32 v3, v57, s15, -v43
	v_add_f32_e32 v58, v47, v71
	v_fma_f32 v47, v97, s15, -v60
	v_add_f32_e32 v3, v3, v59
	v_add_f32_e32 v59, v47, v70
	v_mul_f32_e32 v47, 0x3f763a35, v160
	v_mov_b32_e32 v61, v47
	v_fmac_f32_e32 v61, 0xbe8c1d8e, v102
	v_mul_f32_e32 v62, 0x3f763a35, v159
	v_add_f32_e32 v61, v61, v58
	v_fma_f32 v58, v103, s12, -v62
	v_add_f32_e32 v59, v58, v59
	v_mul_f32_e32 v58, 0x3f2c7751, v164
	v_mov_b32_e32 v63, v58
	v_fmac_f32_e32 v63, 0x3f3d2fb0, v161
	v_mul_f32_e32 v171, 0x3f2c7751, v163
	v_add_f32_e32 v61, v63, v61
	v_fma_f32 v63, v162, s1, -v171
	v_add_f32_e32 v63, v63, v59
	v_mul_f32_e32 v59, 0xbeb8f4ab, v174
	v_mov_b32_e32 v70, v59
	v_fmac_f32_e32 v70, 0x3f6eb680, v165
	v_mul_f32_e32 v172, 0xbeb8f4ab, v170
	v_add_f32_e32 v70, v70, v61
	v_fma_f32 v61, v166, s0, -v172
	v_add_f32_e32 v63, v61, v63
	v_mul_f32_e32 v61, 0xbf7ee86f, v178
	v_mov_b32_e32 v71, v61
	v_fmac_f32_e32 v71, 0x3dbcf732, v54
	v_mul_f32_e32 v173, 0xbf7ee86f, v177
	v_add_f32_e32 v70, v71, v70
	v_fma_f32 v71, v55, s5, -v173
	v_add_f32_e32 v71, v71, v63
	v_mul_f32_e32 v63, 0xbf06c442, v180
	v_mov_b32_e32 v141, v63
	v_fmac_f32_e32 v141, 0xbf59a7d5, v56
	v_mul_f32_e32 v175, 0xbf06c442, v179
	v_add_f32_e32 v139, v141, v70
	v_fma_f32 v70, v57, s14, -v175
	v_mul_f32_e32 v143, 0xbf7ee86f, v93
	v_add_f32_e32 v140, v70, v71
	v_fma_f32 v70, v80, s5, -v143
	v_mul_f32_e32 v144, 0xbe3c28d5, v101
	v_add_f32_e32 v70, v70, v4
	v_fma_f32 v71, v88, s15, -v144
	v_mul_f32_e32 v145, 0xbf7ee86f, v91
	v_add_f32_e32 v70, v71, v70
	v_mov_b32_e32 v71, v145
	v_mul_f32_e32 v146, 0xbe3c28d5, v99
	v_fmac_f32_e32 v71, 0x3dbcf732, v81
	v_mov_b32_e32 v147, v146
	v_add_f32_e32 v71, v71, v5
	v_fmac_f32_e32 v147, 0xbf7ba420, v89
	v_add_f32_e32 v71, v147, v71
	v_mul_f32_e32 v147, 0x3f763a35, v158
	v_fma_f32 v148, v96, s12, -v147
	v_add_f32_e32 v70, v148, v70
	v_mul_f32_e32 v148, 0x3f763a35, v157
	v_mov_b32_e32 v149, v148
	v_fmac_f32_e32 v149, 0xbe8c1d8e, v97
	v_add_f32_e32 v71, v149, v71
	v_mul_f32_e32 v149, 0x3eb8f4ab, v160
	v_fma_f32 v150, v102, s0, -v149
	v_add_f32_e32 v70, v150, v70
	v_mul_f32_e32 v150, 0x3eb8f4ab, v159
	v_mov_b32_e32 v151, v150
	;; [unrolled: 7-line block ×4, first 2 shown]
	v_fmac_f32_e32 v155, 0xbf59a7d5, v166
	v_fmac_f32_e32 v143, 0x3dbcf732, v80
	v_add_f32_e32 v71, v155, v71
	v_mul_f32_e32 v155, 0x3f4c4adb, v178
	v_add_f32_e32 v143, v143, v4
	v_fmac_f32_e32 v144, 0xbf7ba420, v88
	v_fma_f32 v156, v54, s13, -v155
	v_add_f32_e32 v143, v144, v143
	v_fma_f32 v144, v81, s5, -v145
	v_add_f32_e32 v70, v156, v70
	v_mul_f32_e32 v156, 0x3f4c4adb, v177
	v_add_f32_e32 v144, v144, v5
	v_fma_f32 v145, v89, s15, -v146
	v_mov_b32_e32 v181, v156
	v_add_f32_e32 v144, v145, v144
	v_fma_f32 v145, v97, s12, -v148
	v_fmac_f32_e32 v181, 0xbf1a4643, v55
	v_add_f32_e32 v144, v145, v144
	v_fma_f32 v145, v103, s0, -v150
	v_add_f32_e32 v71, v181, v71
	v_mul_f32_e32 v181, 0x3f2c7751, v180
	v_add_f32_e32 v144, v145, v144
	v_fma_f32 v145, v162, s4, -v152
	v_fma_f32 v182, v56, s1, -v181
	v_add_f32_e32 v144, v145, v144
	v_fma_f32 v145, v166, s14, -v154
	v_add_f32_e32 v70, v182, v70
	v_mul_f32_e32 v182, 0x3f2c7751, v179
	v_fmac_f32_e32 v147, 0xbe8c1d8e, v96
	v_add_f32_e32 v144, v145, v144
	v_fma_f32 v145, v55, s13, -v156
	v_add_f32_e32 v143, v147, v143
	v_add_f32_e32 v144, v145, v144
	v_fma_f32 v145, v57, s1, -v182
	v_mul_f32_e32 v147, 0xbf763a35, v93
	v_fmac_f32_e32 v149, 0x3f6eb680, v102
	v_add_f32_e32 v144, v145, v144
	v_fma_f32 v145, v80, s12, -v147
	v_mul_f32_e32 v148, 0x3f06c442, v101
	v_add_f32_e32 v143, v149, v143
	v_add_f32_e32 v145, v145, v4
	v_fma_f32 v146, v88, s14, -v148
	v_mul_f32_e32 v149, 0xbf763a35, v91
	v_fmac_f32_e32 v151, 0x3ee437d1, v161
	v_add_f32_e32 v145, v146, v145
	v_mov_b32_e32 v146, v149
	v_mul_f32_e32 v150, 0x3f06c442, v99
	v_add_f32_e32 v143, v151, v143
	v_fmac_f32_e32 v146, 0xbe8c1d8e, v81
	v_mov_b32_e32 v151, v150
	v_add_f32_e32 v146, v146, v5
	v_fmac_f32_e32 v151, 0xbf59a7d5, v89
	v_add_f32_e32 v146, v151, v146
	v_mul_f32_e32 v151, 0x3f2c7751, v158
	v_fma_f32 v152, v96, s1, -v151
	v_fmac_f32_e32 v153, 0xbf59a7d5, v165
	v_add_f32_e32 v145, v152, v145
	v_mul_f32_e32 v152, 0x3f2c7751, v157
	v_add_f32_e32 v143, v153, v143
	v_mov_b32_e32 v153, v152
	v_fmac_f32_e32 v153, 0x3f3d2fb0, v97
	v_add_f32_e32 v146, v153, v146
	v_mul_f32_e32 v153, 0xbf65296c, v160
	v_fma_f32 v154, v102, s4, -v153
	v_fmac_f32_e32 v155, 0xbf1a4643, v54
	v_add_f32_e32 v145, v154, v145
	v_mul_f32_e32 v154, 0xbf65296c, v159
	v_add_f32_e32 v143, v155, v143
	v_mov_b32_e32 v155, v154
	;; [unrolled: 9-line block ×3, first 2 shown]
	v_fmac_f32_e32 v181, 0xbf7ba420, v162
	v_add_f32_e32 v146, v181, v146
	v_mul_f32_e32 v181, 0x3f7ee86f, v174
	v_mov_b32_e32 v183, v182
	v_fma_f32 v182, v165, s5, -v181
	v_fmac_f32_e32 v183, 0x3f3d2fb0, v57
	v_add_f32_e32 v145, v182, v145
	v_mul_f32_e32 v182, 0x3f7ee86f, v170
	v_add_f32_e32 v71, v183, v71
	v_mov_b32_e32 v183, v182
	v_fmac_f32_e32 v183, 0x3dbcf732, v166
	v_fmac_f32_e32 v147, 0xbe8c1d8e, v80
	v_add_f32_e32 v146, v183, v146
	v_mul_f32_e32 v183, 0xbeb8f4ab, v178
	v_add_f32_e32 v147, v147, v4
	v_fmac_f32_e32 v148, 0xbf59a7d5, v88
	v_fma_f32 v184, v54, s0, -v183
	v_add_f32_e32 v147, v148, v147
	v_fma_f32 v148, v81, s12, -v149
	v_add_f32_e32 v145, v184, v145
	v_mul_f32_e32 v184, 0xbeb8f4ab, v177
	v_add_f32_e32 v148, v148, v5
	v_fma_f32 v149, v89, s14, -v150
	v_mov_b32_e32 v185, v184
	v_add_f32_e32 v148, v149, v148
	v_fma_f32 v149, v97, s1, -v152
	v_fmac_f32_e32 v185, 0x3f6eb680, v55
	v_add_f32_e32 v148, v149, v148
	v_fma_f32 v149, v103, s4, -v154
	v_add_f32_e32 v146, v185, v146
	v_mul_f32_e32 v185, 0xbf4c4adb, v180
	v_add_f32_e32 v148, v149, v148
	v_fma_f32 v149, v162, s15, -v156
	v_fma_f32 v186, v56, s13, -v185
	v_add_f32_e32 v148, v149, v148
	v_fma_f32 v149, v166, s5, -v182
	v_add_f32_e32 v145, v186, v145
	v_mul_f32_e32 v186, 0xbf4c4adb, v179
	v_fmac_f32_e32 v151, 0x3f3d2fb0, v96
	v_add_f32_e32 v148, v149, v148
	v_fma_f32 v149, v55, s0, -v184
	v_add_f32_e32 v147, v151, v147
	v_add_f32_e32 v148, v149, v148
	v_fma_f32 v149, v57, s13, -v186
	v_mul_f32_e32 v151, 0xbf4c4adb, v93
	v_fmac_f32_e32 v153, 0x3ee437d1, v102
	v_add_f32_e32 v142, v149, v148
	v_fma_f32 v149, v80, s13, -v151
	v_mul_f32_e32 v152, 0x3f763a35, v101
	v_add_f32_e32 v147, v153, v147
	v_add_f32_e32 v149, v149, v4
	v_fma_f32 v150, v88, s12, -v152
	v_mul_f32_e32 v153, 0xbf4c4adb, v91
	v_fmac_f32_e32 v155, 0xbf7ba420, v161
	v_add_f32_e32 v149, v150, v149
	v_mov_b32_e32 v150, v153
	v_mul_f32_e32 v154, 0x3f763a35, v99
	v_add_f32_e32 v147, v155, v147
	v_fmac_f32_e32 v150, 0xbf1a4643, v81
	v_mov_b32_e32 v155, v154
	v_add_f32_e32 v150, v150, v5
	v_fmac_f32_e32 v155, 0xbe8c1d8e, v89
	v_add_f32_e32 v150, v155, v150
	v_mul_f32_e32 v155, 0xbeb8f4ab, v158
	v_fma_f32 v156, v96, s0, -v155
	v_fmac_f32_e32 v181, 0x3dbcf732, v165
	v_add_f32_e32 v149, v156, v149
	v_mul_f32_e32 v156, 0xbeb8f4ab, v157
	v_add_f32_e32 v147, v181, v147
	v_mov_b32_e32 v181, v156
	v_fmac_f32_e32 v181, 0x3f6eb680, v97
	v_add_f32_e32 v150, v181, v150
	v_mul_f32_e32 v181, 0xbf06c442, v160
	v_fma_f32 v182, v102, s14, -v181
	v_fmac_f32_e32 v183, 0x3f6eb680, v54
	v_add_f32_e32 v149, v182, v149
	v_mul_f32_e32 v182, 0xbf06c442, v159
	v_add_f32_e32 v147, v183, v147
	v_mov_b32_e32 v183, v182
	;; [unrolled: 9-line block ×3, first 2 shown]
	v_fmac_f32_e32 v185, 0x3dbcf732, v162
	v_add_f32_e32 v150, v185, v150
	v_mul_f32_e32 v185, 0xbf2c7751, v174
	v_mov_b32_e32 v187, v186
	v_fma_f32 v186, v165, s1, -v185
	v_fmac_f32_e32 v187, 0xbf1a4643, v57
	v_add_f32_e32 v149, v186, v149
	v_mul_f32_e32 v186, 0xbf2c7751, v170
	v_add_f32_e32 v146, v187, v146
	v_mov_b32_e32 v187, v186
	v_fmac_f32_e32 v187, 0x3f3d2fb0, v166
	v_add_f32_e32 v150, v187, v150
	v_mul_f32_e32 v187, 0xbe3c28d5, v178
	v_fmac_f32_e32 v151, 0xbf1a4643, v80
	v_fma_f32 v188, v54, s15, -v187
	v_add_f32_e32 v151, v151, v4
	v_fmac_f32_e32 v152, 0xbe8c1d8e, v88
	v_add_f32_e32 v149, v188, v149
	v_mul_f32_e32 v188, 0xbe3c28d5, v177
	v_add_f32_e32 v151, v152, v151
	v_fma_f32 v152, v81, s13, -v153
	v_mov_b32_e32 v189, v188
	v_add_f32_e32 v152, v152, v5
	v_fma_f32 v153, v89, s12, -v154
	v_fmac_f32_e32 v189, 0xbf7ba420, v55
	v_add_f32_e32 v152, v153, v152
	v_fma_f32 v153, v97, s0, -v156
	v_add_f32_e32 v150, v189, v150
	v_mul_f32_e32 v189, 0x3f65296c, v180
	v_add_f32_e32 v152, v153, v152
	v_fma_f32 v153, v103, s14, -v182
	v_fma_f32 v190, v56, s4, -v189
	v_add_f32_e32 v152, v153, v152
	v_fma_f32 v153, v162, s5, -v184
	v_add_f32_e32 v147, v190, v149
	v_mul_f32_e32 v190, 0x3f65296c, v179
	v_add_f32_e32 v152, v153, v152
	v_fma_f32 v153, v166, s1, -v186
	v_mov_b32_e32 v191, v190
	v_fmac_f32_e32 v155, 0x3f6eb680, v96
	v_add_f32_e32 v152, v153, v152
	v_fma_f32 v153, v55, s15, -v188
	v_fmac_f32_e32 v191, 0x3ee437d1, v57
	v_add_f32_e32 v151, v155, v151
	v_add_f32_e32 v152, v153, v152
	v_fma_f32 v153, v57, s4, -v190
	v_mul_f32_e32 v155, 0xbf06c442, v93
	v_add_f32_e32 v148, v191, v150
	v_fmac_f32_e32 v181, 0xbf59a7d5, v102
	v_add_f32_e32 v150, v153, v152
	v_fma_f32 v153, v80, s14, -v155
	v_mul_f32_e32 v156, 0x3f65296c, v101
	v_add_f32_e32 v151, v181, v151
	v_add_f32_e32 v153, v153, v4
	v_fma_f32 v154, v88, s4, -v156
	v_mul_f32_e32 v181, 0xbf06c442, v91
	v_fmac_f32_e32 v183, 0x3dbcf732, v161
	v_add_f32_e32 v153, v154, v153
	v_mov_b32_e32 v154, v181
	v_mul_f32_e32 v182, 0x3f65296c, v99
	v_add_f32_e32 v151, v183, v151
	v_fmac_f32_e32 v154, 0xbf59a7d5, v81
	v_mov_b32_e32 v183, v182
	v_add_f32_e32 v154, v154, v5
	v_fmac_f32_e32 v183, 0x3ee437d1, v89
	v_add_f32_e32 v154, v183, v154
	v_mul_f32_e32 v183, 0xbf7ee86f, v158
	v_fma_f32 v184, v96, s5, -v183
	v_fmac_f32_e32 v185, 0x3f3d2fb0, v165
	v_add_f32_e32 v153, v184, v153
	v_mul_f32_e32 v184, 0xbf7ee86f, v157
	v_add_f32_e32 v151, v185, v151
	v_mov_b32_e32 v185, v184
	v_fmac_f32_e32 v185, 0x3dbcf732, v97
	v_add_f32_e32 v154, v185, v154
	v_mul_f32_e32 v185, 0x3f4c4adb, v160
	v_fma_f32 v186, v102, s13, -v185
	v_fmac_f32_e32 v187, 0xbf7ba420, v54
	v_add_f32_e32 v153, v186, v153
	v_mul_f32_e32 v186, 0x3f4c4adb, v159
	v_add_f32_e32 v151, v187, v151
	v_mov_b32_e32 v187, v186
	;; [unrolled: 9-line block ×3, first 2 shown]
	v_fmac_f32_e32 v189, 0x3f6eb680, v162
	v_add_f32_e32 v154, v189, v154
	v_mul_f32_e32 v189, 0xbe3c28d5, v174
	v_fma_f32 v190, v165, s15, -v189
	v_add_f32_e32 v153, v190, v153
	v_mul_f32_e32 v190, 0xbe3c28d5, v170
	v_mov_b32_e32 v191, v190
	v_fmac_f32_e32 v191, 0xbf7ba420, v166
	v_fmac_f32_e32 v155, 0xbf59a7d5, v80
	v_add_f32_e32 v154, v191, v154
	v_mul_f32_e32 v191, 0x3f2c7751, v178
	v_add_f32_e32 v155, v155, v4
	v_fmac_f32_e32 v156, 0x3ee437d1, v88
	v_fma_f32 v192, v54, s1, -v191
	v_add_f32_e32 v155, v156, v155
	v_fma_f32 v156, v81, s14, -v181
	v_add_f32_e32 v153, v192, v153
	v_mul_f32_e32 v192, 0x3f2c7751, v177
	v_add_f32_e32 v156, v156, v5
	v_fma_f32 v181, v89, s4, -v182
	v_mov_b32_e32 v193, v192
	v_add_f32_e32 v156, v181, v156
	v_fma_f32 v181, v97, s5, -v184
	v_fmac_f32_e32 v193, 0x3f3d2fb0, v55
	v_add_f32_e32 v156, v181, v156
	v_fma_f32 v181, v103, s13, -v186
	v_add_f32_e32 v154, v193, v154
	v_mul_f32_e32 v193, 0xbf763a35, v180
	v_add_f32_e32 v156, v181, v156
	v_fma_f32 v181, v162, s0, -v188
	v_fma_f32 v194, v56, s12, -v193
	v_add_f32_e32 v156, v181, v156
	v_fma_f32 v181, v166, s15, -v190
	v_add_f32_e32 v153, v194, v153
	v_mul_f32_e32 v194, 0xbf763a35, v179
	v_add_f32_e32 v156, v181, v156
	v_fma_f32 v181, v55, s1, -v192
	v_add_f32_e32 v156, v181, v156
	v_fma_f32 v181, v57, s12, -v194
	v_mul_f32_e32 v93, 0xbe3c28d5, v93
	v_add_f32_e32 v231, v181, v156
	v_fma_f32 v181, v80, s15, -v93
	v_mul_f32_e32 v101, 0x3eb8f4ab, v101
	;; [unrolled: 3-line block ×3, first 2 shown]
	v_fmac_f32_e32 v183, 0x3dbcf732, v96
	v_add_f32_e32 v181, v182, v181
	v_mov_b32_e32 v182, v91
	v_mul_f32_e32 v99, 0x3eb8f4ab, v99
	v_add_f32_e32 v155, v183, v155
	v_fmac_f32_e32 v182, 0xbf7ba420, v81
	v_mov_b32_e32 v183, v99
	v_add_f32_e32 v182, v182, v5
	v_fmac_f32_e32 v183, 0x3f6eb680, v89
	v_add_f32_e32 v182, v183, v182
	v_mul_f32_e32 v183, 0xbf06c442, v158
	v_fma_f32 v158, v96, s14, -v183
	v_add_f32_e32 v158, v158, v181
	v_mul_f32_e32 v181, 0xbf06c442, v157
	v_mov_b32_e32 v157, v181
	v_fmac_f32_e32 v157, 0xbf59a7d5, v97
	v_mul_f32_e32 v160, 0x3f2c7751, v160
	v_add_f32_e32 v157, v157, v182
	v_fma_f32 v182, v102, s1, -v160
	v_mul_f32_e32 v159, 0x3f2c7751, v159
	v_add_f32_e32 v158, v182, v158
	v_mov_b32_e32 v182, v159
	v_fmac_f32_e32 v182, 0x3f3d2fb0, v103
	v_mul_f32_e32 v164, 0xbf4c4adb, v164
	v_add_f32_e32 v157, v182, v157
	v_fma_f32 v182, v161, s13, -v164
	v_mul_f32_e32 v163, 0xbf4c4adb, v163
	v_add_f32_e32 v158, v182, v158
	v_mov_b32_e32 v182, v163
	v_fmac_f32_e32 v182, 0xbf1a4643, v162
	v_mul_f32_e32 v174, 0x3f65296c, v174
	v_add_f32_e32 v157, v182, v157
	v_fma_f32 v182, v165, s4, -v174
	v_mul_f32_e32 v170, 0x3f65296c, v170
	v_fmac_f32_e32 v93, 0xbf7ba420, v80
	v_add_f32_e32 v158, v182, v158
	v_mov_b32_e32 v182, v170
	v_add_f32_e32 v93, v93, v4
	v_fmac_f32_e32 v101, 0x3f6eb680, v88
	v_fma_f32 v91, v81, s15, -v91
	v_fmac_f32_e32 v182, 0x3ee437d1, v166
	v_mul_f32_e32 v178, 0xbf763a35, v178
	v_add_f32_e32 v93, v101, v93
	v_add_f32_e32 v91, v91, v5
	v_fma_f32 v99, v89, s0, -v99
	v_fmac_f32_e32 v183, 0xbf59a7d5, v96
	v_add_f32_e32 v157, v182, v157
	v_fma_f32 v182, v54, s12, -v178
	v_mul_f32_e32 v177, 0xbf763a35, v177
	v_add_f32_e32 v91, v99, v91
	v_add_f32_e32 v93, v183, v93
	v_fma_f32 v99, v97, s14, -v181
	v_fmac_f32_e32 v160, 0x3f3d2fb0, v102
	v_fmac_f32_e32 v185, 0xbf1a4643, v102
	v_add_f32_e32 v158, v182, v158
	v_mov_b32_e32 v182, v177
	v_add_f32_e32 v91, v99, v91
	v_add_f32_e32 v93, v160, v93
	v_fma_f32 v99, v103, s1, -v159
	v_fmac_f32_e32 v164, 0xbf1a4643, v161
	v_add_f32_e32 v155, v185, v155
	v_fmac_f32_e32 v187, 0x3f6eb680, v161
	v_fmac_f32_e32 v182, 0xbe8c1d8e, v55
	v_mul_f32_e32 v180, 0x3f7ee86f, v180
	v_add_f32_e32 v91, v99, v91
	v_add_f32_e32 v93, v164, v93
	v_fma_f32 v99, v162, s13, -v163
	v_fmac_f32_e32 v174, 0x3ee437d1, v165
	v_add_f32_e32 v155, v187, v155
	v_fmac_f32_e32 v189, 0xbf7ba420, v165
	v_add_f32_e32 v182, v182, v157
	v_fma_f32 v157, v56, s5, -v180
	v_mul_f32_e32 v179, 0x3f7ee86f, v179
	v_add_f32_e32 v91, v99, v91
	v_add_f32_e32 v93, v174, v93
	v_fma_f32 v99, v166, s4, -v170
	v_fmac_f32_e32 v178, 0xbe8c1d8e, v54
	v_mov_b32_e32 v195, v194
	v_add_f32_e32 v155, v189, v155
	v_fmac_f32_e32 v191, 0x3f3d2fb0, v54
	v_add_f32_e32 v246, v157, v158
	v_mov_b32_e32 v158, v179
	v_add_f32_e32 v91, v99, v91
	v_add_f32_e32 v93, v178, v93
	v_fma_f32 v99, v55, s12, -v177
	v_fmac_f32_e32 v180, 0x3dbcf732, v56
	v_fmac_f32_e32 v195, 0xbe8c1d8e, v57
	v_add_f32_e32 v155, v191, v155
	v_fmac_f32_e32 v193, 0xbe8c1d8e, v56
	v_fmac_f32_e32 v158, 0x3dbcf732, v57
	v_add_f32_e32 v91, v99, v91
	v_add_f32_e32 v157, v180, v93
	v_fma_f32 v93, v57, s5, -v179
	ds_write_b64 v176, v[36:37] offset:128
	v_add_co_u32_e64 v36, s[0:1], 17, v107
	v_add_f32_e32 v154, v195, v154
	v_add_f32_e32 v230, v193, v155
	;; [unrolled: 1-line block ×4, first 2 shown]
	v_mul_u32_u24_e32 v167, 17, v36
	s_and_saveexec_b64 s[0:1], vcc
	s_cbranch_execz .LBB0_7
; %bb.6:
	v_mul_f32_e32 v37, 0x3ee437d1, v81
	v_mul_f32_e32 v93, 0x3f6eb680, v81
	v_mul_f32_e32 v101, 0x3f3d2fb0, v81
	v_mul_f32_e32 v81, 0x3f3d2fb0, v89
	v_mul_f32_e32 v164, 0x3dbcf732, v89
	v_mul_f32_e32 v89, 0xbf1a4643, v89
	v_add_f32_e32 v37, v78, v37
	v_mul_f32_e32 v177, 0x3ee437d1, v97
	v_mul_f32_e32 v179, 0xbf1a4643, v97
	v_mul_f32_e32 v97, 0xbf7ba420, v97
	v_add_f32_e32 v37, v37, v5
	v_add_f32_e32 v78, v86, v89
	v_mul_f32_e32 v181, 0x3dbcf732, v103
	v_mul_f32_e32 v183, 0xbf7ba420, v103
	v_mul_f32_e32 v103, 0xbe8c1d8e, v103
	v_add_f32_e32 v37, v78, v37
	;; [unrolled: 5-line block ×5, first 2 shown]
	v_add_f32_e32 v60, v172, v166
	v_mul_f32_e32 v36, 0x3ee437d1, v80
	v_mul_f32_e32 v197, 0xbf7ba420, v57
	;; [unrolled: 1-line block ×4, first 2 shown]
	v_add_f32_e32 v37, v60, v37
	v_add_f32_e32 v55, v173, v55
	v_mul_f32_e32 v91, 0x3f6eb680, v80
	v_mul_f32_e32 v99, 0x3f3d2fb0, v80
	;; [unrolled: 1-line block ×5, first 2 shown]
	v_add_f32_e32 v37, v55, v37
	v_add_f32_e32 v55, v175, v57
	v_sub_f32_e32 v36, v36, v76
	v_mul_f32_e32 v174, 0x3ee437d1, v96
	v_mul_f32_e32 v178, 0xbf1a4643, v96
	;; [unrolled: 1-line block ×3, first 2 shown]
	v_add_f32_e32 v37, v55, v37
	v_add_f32_e32 v36, v36, v4
	v_sub_f32_e32 v55, v88, v84
	v_mul_f32_e32 v180, 0x3dbcf732, v102
	v_mul_f32_e32 v182, 0xbf7ba420, v102
	v_mul_f32_e32 v102, 0xbe8c1d8e, v102
	v_add_f32_e32 v36, v55, v36
	v_sub_f32_e32 v46, v96, v46
	v_mul_f32_e32 v184, 0xbe8c1d8e, v161
	v_mul_f32_e32 v186, 0xbf59a7d5, v161
	v_mul_f32_e32 v161, 0x3f3d2fb0, v161
	v_add_f32_e32 v36, v46, v36
	v_sub_f32_e32 v46, v102, v47
	v_mul_f32_e32 v188, 0xbf1a4643, v165
	v_mul_f32_e32 v190, 0xbe8c1d8e, v165
	v_mul_f32_e32 v165, 0x3f6eb680, v165
	v_add_f32_e32 v36, v46, v36
	v_sub_f32_e32 v46, v161, v58
	v_mul_f32_e32 v192, 0xbf59a7d5, v54
	v_mul_f32_e32 v194, 0x3ee437d1, v54
	v_mul_f32_e32 v54, 0x3dbcf732, v54
	v_add_f32_e32 v36, v46, v36
	v_sub_f32_e32 v46, v165, v59
	v_mul_f32_e32 v196, 0xbf7ba420, v56
	v_mul_f32_e32 v198, 0x3f6eb680, v56
	v_mul_f32_e32 v56, 0xbf59a7d5, v56
	v_add_f32_e32 v36, v46, v36
	v_sub_f32_e32 v46, v54, v61
	v_add_f32_e32 v36, v46, v36
	v_sub_f32_e32 v46, v56, v63
	v_add_f32_e32 v36, v46, v36
	v_add_f32_e32 v46, v75, v101
	;; [unrolled: 1-line block ×17, first 2 shown]
	v_sub_f32_e32 v41, v99, v74
	v_add_f32_e32 v41, v41, v4
	v_sub_f32_e32 v46, v163, v82
	v_add_f32_e32 v41, v46, v41
	;; [unrolled: 2-line block ×8, first 2 shown]
	v_add_f32_e32 v40, v69, v93
	v_add_f32_e32 v40, v40, v5
	;; [unrolled: 1-line block ×16, first 2 shown]
	v_sub_f32_e32 v40, v91, v68
	v_add_f32_e32 v40, v40, v4
	v_add_f32_e32 v5, v7, v5
	;; [unrolled: 1-line block ×17, first 2 shown]
	v_sub_f32_e32 v43, v80, v77
	v_add_f32_e32 v5, v11, v5
	v_add_f32_e32 v4, v10, v4
	v_add_f32_e32 v40, v43, v40
	v_sub_f32_e32 v43, v174, v85
	v_add_f32_e32 v5, v13, v5
	v_add_f32_e32 v4, v12, v4
	v_add_f32_e32 v40, v43, v40
	;; [unrolled: 4-line block ×7, first 2 shown]
	v_add_f32_e32 v5, v65, v5
	v_add_f32_e32 v4, v64, v4
	v_lshl_add_u32 v6, v167, 3, v106
	ds_write2_b64 v6, v[4:5], v[40:41] offset1:1
	ds_write2_b64 v6, v[38:39], v[36:37] offset0:2 offset1:3
	ds_write2_b64 v6, v[70:71], v[145:146] offset0:4 offset1:5
	ds_write2_b64 v6, v[147:148], v[153:154] offset0:6 offset1:7
	ds_write2_b64 v6, v[246:247], v[157:158] offset0:8 offset1:9
	ds_write2_b64 v6, v[230:231], v[149:150] offset0:10 offset1:11
	ds_write2_b64 v6, v[141:142], v[143:144] offset0:12 offset1:13
	ds_write2_b64 v6, v[139:140], v[0:1] offset0:14 offset1:15
	ds_write_b64 v6, v[2:3] offset:128
.LBB0_7:
	s_or_b64 exec, exec, s[0:1]
	s_movk_i32 s0, 0xf1
	v_add_u16_e32 v20, 0x55, v107
	v_add_u16_e32 v8, 34, v107
	v_mul_lo_u16_sdwa v21, v20, s0 dst_sel:DWORD dst_unused:UNUSED_PAD src0_sel:BYTE_0 src1_sel:DWORD
	v_mul_lo_u16_sdwa v9, v8, s0 dst_sel:DWORD dst_unused:UNUSED_PAD src0_sel:BYTE_0 src1_sel:DWORD
	v_add_u16_e32 v12, 51, v107
	v_lshrrev_b16_e32 v21, 12, v21
	v_lshrrev_b16_e32 v9, 12, v9
	v_mul_lo_u16_sdwa v13, v12, s0 dst_sel:DWORD dst_unused:UNUSED_PAD src0_sel:BYTE_0 src1_sel:DWORD
	v_add_u16_e32 v16, 0x44, v107
	v_mul_lo_u16_e32 v21, 17, v21
	v_mul_lo_u16_e32 v9, 17, v9
	v_lshrrev_b16_e32 v13, 12, v13
	v_mul_lo_u16_sdwa v17, v16, s0 dst_sel:DWORD dst_unused:UNUSED_PAD src0_sel:BYTE_0 src1_sel:DWORD
	v_sub_u16_e32 v77, v20, v21
	v_sub_u16_e32 v74, v8, v9
	v_mul_lo_u16_e32 v13, 17, v13
	v_lshrrev_b16_e32 v17, 12, v17
	v_lshlrev_b16_e32 v20, 1, v77
	v_lshlrev_b16_e32 v8, 1, v74
	v_sub_u16_e32 v75, v12, v13
	v_mul_lo_u16_e32 v17, 17, v17
	v_and_b32_e32 v20, 0xfe, v20
	v_lshlrev_b32_e32 v4, 4, v107
	v_and_b32_e32 v8, 0xfe, v8
	v_lshlrev_b16_e32 v12, 1, v75
	v_sub_u16_e32 v76, v16, v17
	v_lshlrev_b32_e32 v20, 3, v20
	v_add_u16_e32 v21, 0x66, v107
	s_waitcnt lgkmcnt(0)
	s_barrier
	global_load_dwordx4 v[4:7], v4, s[2:3]
	v_lshlrev_b32_e32 v8, 3, v8
	global_load_dwordx4 v[8:11], v8, s[2:3]
	v_and_b32_e32 v12, 0xfe, v12
	v_lshlrev_b16_e32 v16, 1, v76
	global_load_dwordx4 v[24:27], v20, s[2:3]
	v_mul_lo_u16_sdwa v20, v21, s0 dst_sel:DWORD dst_unused:UNUSED_PAD src0_sel:BYTE_0 src1_sel:DWORD
	v_lshlrev_b32_e32 v12, 3, v12
	v_and_b32_e32 v16, 0xfe, v16
	v_lshrrev_b16_e32 v20, 12, v20
	global_load_dwordx4 v[12:15], v12, s[2:3]
	v_lshlrev_b32_e32 v16, 3, v16
	global_load_dwordx4 v[16:19], v16, s[2:3]
	v_mul_lo_u16_e32 v20, 17, v20
	v_sub_u16_e32 v78, v21, v20
	v_lshlrev_b16_e32 v20, 1, v78
	v_and_b32_e32 v20, 0xfe, v20
	v_lshlrev_b32_e32 v20, 3, v20
	global_load_dwordx4 v[20:23], v20, s[2:3]
	ds_read2_b64 v[28:31], v168 offset1:17
	ds_read2_b64 v[32:35], v168 offset0:102 offset1:119
	ds_read2_b64 v[36:39], v168 offset0:238 offset1:255
	;; [unrolled: 1-line block ×4, first 2 shown]
	v_add_u32_e32 v96, 0x800, v168
	ds_read2_b64 v[48:51], v168 offset0:170 offset1:187
	ds_read2_b64 v[52:55], v168 offset0:68 offset1:85
	;; [unrolled: 1-line block ×3, first 2 shown]
	ds_read_b64 v[68:69], v168 offset:2720
	ds_read2_b64 v[60:63], v96 offset0:16 offset1:33
	ds_read2_b64 v[64:67], v96 offset0:50 offset1:67
	s_waitcnt vmcnt(0) lgkmcnt(0)
	s_barrier
	v_mul_f32_e32 v79, v35, v5
	v_mul_f32_e32 v80, v34, v5
	v_fma_f32 v79, v34, v4, -v79
	v_mul_f32_e32 v34, v43, v9
	v_fma_f32 v89, v42, v8, -v34
	v_mul_f32_e32 v81, v37, v7
	v_fmac_f32_e32 v80, v35, v4
	v_fma_f32 v81, v36, v6, -v81
	v_mul_f32_e32 v35, v61, v11
	v_mul_f32_e32 v82, v36, v7
	;; [unrolled: 1-line block ×3, first 2 shown]
	v_fma_f32 v90, v62, v14, -v34
	v_mul_f32_e32 v62, v62, v15
	v_mul_f32_e32 v34, v51, v17
	v_fmac_f32_e32 v62, v63, v14
	v_fma_f32 v63, v50, v16, -v34
	v_mul_f32_e32 v34, v65, v19
	v_fma_f32 v92, v64, v18, -v34
	v_mul_f32_e32 v64, v64, v19
	v_mul_f32_e32 v34, v57, v25
	v_fmac_f32_e32 v64, v65, v18
	v_fma_f32 v65, v56, v24, -v34
	v_mul_f32_e32 v34, v67, v27
	v_fma_f32 v94, v66, v26, -v34
	v_mul_f32_e32 v34, v59, v21
	v_mul_f32_e32 v87, v60, v11
	v_fma_f32 v60, v60, v10, -v35
	v_fma_f32 v95, v58, v20, -v34
	v_mul_f32_e32 v34, v69, v23
	v_add_f32_e32 v35, v79, v81
	v_fmac_f32_e32 v82, v37, v6
	v_mul_f32_e32 v36, v49, v13
	v_fma_f32 v98, v68, v22, -v34
	v_add_f32_e32 v34, v28, v79
	v_fma_f32 v28, -0.5, v35, v28
	v_mul_f32_e32 v83, v41, v5
	v_mul_f32_e32 v84, v40, v5
	;; [unrolled: 1-line block ×3, first 2 shown]
	v_fmac_f32_e32 v87, v61, v10
	v_fma_f32 v61, v48, v12, -v36
	v_sub_f32_e32 v35, v80, v82
	v_mov_b32_e32 v36, v28
	v_add_f32_e32 v37, v80, v82
	v_mul_f32_e32 v86, v38, v7
	v_fma_f32 v83, v40, v4, -v83
	v_fmac_f32_e32 v84, v41, v4
	v_fma_f32 v41, v38, v6, -v85
	v_fmac_f32_e32 v36, 0x3f5db3d7, v35
	v_fmac_f32_e32 v28, 0xbf5db3d7, v35
	v_add_f32_e32 v35, v29, v80
	v_fma_f32 v29, -0.5, v37, v29
	v_fmac_f32_e32 v86, v39, v6
	v_sub_f32_e32 v38, v79, v81
	v_mov_b32_e32 v37, v29
	v_add_f32_e32 v39, v83, v41
	v_fmac_f32_e32 v37, 0xbf5db3d7, v38
	v_fmac_f32_e32 v29, 0x3f5db3d7, v38
	v_add_f32_e32 v38, v30, v83
	v_fma_f32 v30, -0.5, v39, v30
	v_mul_f32_e32 v85, v42, v9
	v_sub_f32_e32 v39, v84, v86
	v_mov_b32_e32 v40, v30
	v_add_f32_e32 v42, v84, v86
	v_fmac_f32_e32 v40, 0x3f5db3d7, v39
	v_fmac_f32_e32 v30, 0xbf5db3d7, v39
	v_add_f32_e32 v39, v31, v84
	v_fmac_f32_e32 v31, -0.5, v42
	v_fmac_f32_e32 v85, v43, v8
	v_add_f32_e32 v38, v38, v41
	v_sub_f32_e32 v42, v83, v41
	v_mov_b32_e32 v41, v31
	v_add_f32_e32 v43, v89, v60
	v_mul_f32_e32 v88, v48, v13
	v_fmac_f32_e32 v41, 0xbf5db3d7, v42
	v_fmac_f32_e32 v31, 0x3f5db3d7, v42
	v_add_f32_e32 v42, v44, v89
	v_fma_f32 v44, -0.5, v43, v44
	v_fmac_f32_e32 v88, v49, v12
	v_sub_f32_e32 v43, v85, v87
	v_mov_b32_e32 v48, v44
	v_add_f32_e32 v49, v85, v87
	v_mul_f32_e32 v91, v50, v17
	v_fmac_f32_e32 v48, 0x3f5db3d7, v43
	v_fmac_f32_e32 v44, 0xbf5db3d7, v43
	v_add_f32_e32 v43, v45, v85
	v_fma_f32 v45, -0.5, v49, v45
	v_fmac_f32_e32 v91, v51, v16
	;; [unrolled: 9-line block ×3, first 2 shown]
	v_sub_f32_e32 v51, v88, v62
	v_mov_b32_e32 v56, v46
	v_add_f32_e32 v57, v88, v62
	v_mul_f32_e32 v97, v58, v21
	v_fmac_f32_e32 v56, 0x3f5db3d7, v51
	v_fmac_f32_e32 v46, 0xbf5db3d7, v51
	v_add_f32_e32 v51, v47, v88
	v_fmac_f32_e32 v47, -0.5, v57
	v_fmac_f32_e32 v97, v59, v20
	v_sub_f32_e32 v58, v61, v90
	v_mov_b32_e32 v57, v47
	v_add_f32_e32 v59, v63, v92
	v_fmac_f32_e32 v57, 0xbf5db3d7, v58
	v_fmac_f32_e32 v47, 0x3f5db3d7, v58
	v_add_f32_e32 v58, v52, v63
	v_fma_f32 v52, -0.5, v59, v52
	v_add_f32_e32 v42, v42, v60
	v_sub_f32_e32 v59, v91, v64
	v_mov_b32_e32 v60, v52
	v_add_f32_e32 v61, v91, v64
	v_fmac_f32_e32 v60, 0x3f5db3d7, v59
	v_fmac_f32_e32 v52, 0xbf5db3d7, v59
	v_add_f32_e32 v59, v53, v91
	v_fma_f32 v53, -0.5, v61, v53
	v_mul_f32_e32 v66, v66, v27
	v_add_f32_e32 v51, v51, v62
	v_sub_f32_e32 v62, v63, v92
	v_mov_b32_e32 v61, v53
	v_add_f32_e32 v63, v65, v94
	v_fmac_f32_e32 v66, v67, v26
	v_fmac_f32_e32 v61, 0xbf5db3d7, v62
	;; [unrolled: 1-line block ×3, first 2 shown]
	v_add_f32_e32 v62, v54, v65
	v_fma_f32 v54, -0.5, v63, v54
	v_add_f32_e32 v34, v34, v81
	v_add_f32_e32 v35, v35, v82
	;; [unrolled: 1-line block ×3, first 2 shown]
	v_sub_f32_e32 v63, v93, v66
	v_mov_b32_e32 v64, v54
	v_add_f32_e32 v39, v39, v86
	v_fmac_f32_e32 v64, 0x3f5db3d7, v63
	v_fmac_f32_e32 v54, 0xbf5db3d7, v63
	v_add_f32_e32 v63, v55, v93
	ds_write2_b64 v168, v[34:35], v[36:37] offset1:17
	ds_write2_b64 v168, v[28:29], v[38:39] offset0:34 offset1:51
	ds_write2_b64 v168, v[40:41], v[30:31] offset0:68 offset1:85
	v_and_b32_e32 v28, 0xff, v74
	v_add_f32_e32 v63, v63, v66
	v_add_f32_e32 v66, v93, v66
	v_lshl_add_u32 v151, v28, 3, v106
	v_and_b32_e32 v28, 0xff, v75
	v_fmac_f32_e32 v55, -0.5, v66
	v_lshl_add_u32 v152, v28, 3, v106
	v_and_b32_e32 v28, 0xff, v76
	v_mul_f32_e32 v99, v68, v23
	v_sub_f32_e32 v66, v65, v94
	v_mov_b32_e32 v65, v55
	v_add_f32_e32 v67, v95, v98
	v_lshl_add_u32 v155, v28, 3, v106
	v_and_b32_e32 v28, 0xff, v77
	v_fmac_f32_e32 v99, v69, v22
	v_fmac_f32_e32 v65, 0xbf5db3d7, v66
	;; [unrolled: 1-line block ×3, first 2 shown]
	v_add_f32_e32 v66, v32, v95
	v_fma_f32 v32, -0.5, v67, v32
	v_lshl_add_u32 v156, v28, 3, v106
	v_add_f32_e32 v43, v43, v87
	v_add_f32_e32 v50, v50, v90
	;; [unrolled: 1-line block ×4, first 2 shown]
	v_sub_f32_e32 v67, v97, v99
	v_mov_b32_e32 v68, v32
	v_add_f32_e32 v69, v97, v99
	v_add_u32_e32 v28, 0x400, v156
	v_mad_u64_u32 v[40:41], s[0:1], v107, 48, s[2:3]
	v_fmac_f32_e32 v68, 0x3f5db3d7, v67
	v_fmac_f32_e32 v32, 0xbf5db3d7, v67
	v_add_f32_e32 v67, v33, v97
	v_fmac_f32_e32 v33, -0.5, v69
	ds_write2_b64 v151, v[42:43], v[48:49] offset0:102 offset1:119
	ds_write_b64 v151, v[44:45] offset:1088
	ds_write2_b64 v152, v[50:51], v[56:57] offset0:153 offset1:170
	ds_write_b64 v152, v[46:47] offset:1496
	;; [unrolled: 2-line block ×4, first 2 shown]
	v_and_b32_e32 v28, 0xff, v78
	v_sub_f32_e32 v79, v95, v98
	v_mov_b32_e32 v69, v33
	v_lshl_add_u32 v159, v28, 3, v106
	v_add_f32_e32 v66, v66, v98
	v_add_f32_e32 v67, v67, v99
	v_fmac_f32_e32 v69, 0xbf5db3d7, v79
	v_fmac_f32_e32 v33, 0x3f5db3d7, v79
	v_add_u32_e32 v28, 0x800, v159
	ds_write2_b64 v28, v[66:67], v[68:69] offset0:50 offset1:67
	ds_write_b64 v159, v[32:33] offset:2720
	s_waitcnt lgkmcnt(0)
	s_barrier
	global_load_dwordx4 v[48:51], v[40:41], off offset:272
	global_load_dwordx4 v[36:39], v[40:41], off offset:288
	;; [unrolled: 1-line block ×8, first 2 shown]
	s_nop 0
	global_load_dwordx4 v[40:43], v[40:41], off offset:1936
	ds_read2_b64 v[64:67], v168 offset1:17
	ds_read2_b64 v[74:77], v168 offset0:34 offset1:51
	ds_read2_b64 v[78:81], v168 offset0:102 offset1:119
	;; [unrolled: 1-line block ×9, first 2 shown]
	ds_read_b64 v[68:69], v168 offset:2720
	s_mov_b32 s0, 0x3f5ff5aa
	s_mov_b32 s1, 0x3f3bfb3b
	;; [unrolled: 1-line block ×4, first 2 shown]
	s_waitcnt vmcnt(8) lgkmcnt(9)
	v_mul_f32_e32 v94, v77, v49
	v_fma_f32 v94, v76, v48, -v94
	v_mul_f32_e32 v76, v76, v49
	v_fmac_f32_e32 v76, v77, v48
	s_waitcnt lgkmcnt(8)
	v_mul_f32_e32 v77, v79, v51
	v_fma_f32 v77, v78, v50, -v77
	v_mul_f32_e32 v78, v78, v51
	v_fmac_f32_e32 v78, v79, v50
	s_waitcnt vmcnt(7) lgkmcnt(7)
	v_mul_f32_e32 v79, v85, v37
	v_fma_f32 v79, v84, v36, -v79
	v_mul_f32_e32 v84, v84, v37
	v_fmac_f32_e32 v84, v85, v36
	s_waitcnt lgkmcnt(6)
	v_mul_f32_e32 v85, v87, v39
	v_fma_f32 v85, v86, v38, -v85
	v_mul_f32_e32 v86, v86, v39
	v_fmac_f32_e32 v86, v87, v38
	s_waitcnt vmcnt(6) lgkmcnt(5)
	v_mul_f32_e32 v87, v93, v29
	s_waitcnt vmcnt(5)
	v_mul_f32_e32 v101, v81, v59
	v_fma_f32 v87, v92, v28, -v87
	v_mul_f32_e32 v92, v92, v29
	s_waitcnt lgkmcnt(4)
	v_mul_f32_e32 v95, v97, v31
	v_fma_f32 v101, v80, v58, -v101
	v_mul_f32_e32 v102, v80, v59
	s_waitcnt vmcnt(4) lgkmcnt(2)
	v_mul_f32_e32 v80, v178, v45
	v_fmac_f32_e32 v92, v93, v28
	v_mul_f32_e32 v93, v98, v31
	v_fmac_f32_e32 v95, v98, v30
	v_mul_f32_e32 v98, v161, v57
	v_fma_f32 v103, v177, v44, -v80
	v_mul_f32_e32 v80, v89, v47
	v_fma_f32 v93, v97, v30, -v93
	v_mul_f32_e32 v97, v162, v57
	v_fmac_f32_e32 v98, v162, v56
	v_fma_f32 v162, v88, v46, -v80
	s_waitcnt vmcnt(3) lgkmcnt(1)
	v_mul_f32_e32 v80, v182, v33
	v_fma_f32 v165, v181, v32, -v80
	v_mul_f32_e32 v80, v100, v35
	v_fma_f32 v97, v161, v56, -v97
	;; [unrolled: 2-line block ×3, first 2 shown]
	s_waitcnt vmcnt(2)
	v_mul_f32_e32 v80, v164, v61
	v_mul_f32_e32 v166, v181, v33
	v_fma_f32 v181, v163, v60, -v80
	v_mul_f32_e32 v80, v83, v63
	v_fmac_f32_e32 v166, v182, v32
	v_fma_f32 v182, v82, v62, -v80
	s_waitcnt vmcnt(1)
	v_mul_f32_e32 v80, v180, v53
	v_fma_f32 v186, v179, v52, -v80
	v_mul_f32_e32 v179, v179, v53
	v_mul_f32_e32 v80, v91, v55
	v_fmac_f32_e32 v179, v180, v52
	v_fma_f32 v180, v90, v54, -v80
	s_waitcnt vmcnt(0)
	v_mul_f32_e32 v80, v184, v41
	v_fma_f32 v188, v183, v40, -v80
	v_mul_f32_e32 v183, v183, v41
	s_waitcnt lgkmcnt(0)
	v_mul_f32_e32 v80, v69, v43
	v_fmac_f32_e32 v183, v184, v40
	v_fma_f32 v184, v68, v42, -v80
	v_mul_f32_e32 v68, v68, v43
	v_mul_f32_e32 v88, v88, v47
	;; [unrolled: 1-line block ×3, first 2 shown]
	v_fmac_f32_e32 v68, v69, v42
	v_add_f32_e32 v69, v94, v93
	v_add_f32_e32 v82, v77, v87
	v_fmac_f32_e32 v88, v89, v46
	v_fmac_f32_e32 v185, v83, v62
	v_add_f32_e32 v80, v76, v95
	v_add_f32_e32 v83, v78, v92
	v_sub_f32_e32 v77, v77, v87
	v_sub_f32_e32 v78, v78, v92
	v_add_f32_e32 v87, v79, v85
	v_add_f32_e32 v89, v84, v86
	v_sub_f32_e32 v79, v85, v79
	v_sub_f32_e32 v84, v86, v84
	v_add_f32_e32 v85, v82, v69
	v_fmac_f32_e32 v102, v81, v58
	v_sub_f32_e32 v81, v94, v93
	v_sub_f32_e32 v76, v76, v95
	v_add_f32_e32 v86, v83, v80
	v_add_f32_e32 v93, v84, v78
	;; [unrolled: 1-line block ×3, first 2 shown]
	v_mul_f32_e32 v99, v99, v35
	v_mul_f32_e32 v187, v90, v55
	v_sub_f32_e32 v90, v82, v69
	v_sub_f32_e32 v69, v69, v87
	;; [unrolled: 1-line block ×6, first 2 shown]
	v_add_f32_e32 v86, v89, v86
	v_add_f32_e32 v87, v93, v76
	;; [unrolled: 1-line block ×3, first 2 shown]
	v_fmac_f32_e32 v99, v100, v34
	v_fmac_f32_e32 v187, v91, v54
	v_sub_f32_e32 v91, v83, v80
	v_sub_f32_e32 v80, v80, v89
	;; [unrolled: 1-line block ×3, first 2 shown]
	v_add_f32_e32 v92, v79, v77
	v_sub_f32_e32 v94, v79, v77
	v_sub_f32_e32 v100, v77, v81
	v_add_f32_e32 v77, v65, v86
	v_mul_f32_e32 v89, 0xbf08b237, v95
	v_mov_b32_e32 v95, v76
	v_sub_f32_e32 v79, v81, v79
	v_add_f32_e32 v81, v92, v81
	v_mul_f32_e32 v64, 0x3f4a47b2, v69
	v_mul_f32_e32 v65, 0x3f4a47b2, v80
	;; [unrolled: 1-line block ×5, first 2 shown]
	v_fmac_f32_e32 v95, 0xbf955555, v85
	v_mov_b32_e32 v85, v77
	v_mul_f32_e32 v93, 0x3f5ff5aa, v100
	v_fmac_f32_e32 v85, 0xbf955555, v86
	v_fma_f32 v69, v90, s1, -v69
	v_fma_f32 v80, v91, s1, -v80
	;; [unrolled: 1-line block ×3, first 2 shown]
	v_fmac_f32_e32 v64, 0x3d64c772, v82
	v_fma_f32 v82, v91, s2, -v65
	v_fmac_f32_e32 v65, 0x3d64c772, v83
	v_fma_f32 v90, v100, s0, -v92
	;; [unrolled: 2-line block ×3, first 2 shown]
	v_fmac_f32_e32 v89, 0x3eae86e6, v84
	v_mul_f32_e32 v94, 0x3f5ff5aa, v78
	v_fma_f32 v93, v79, s3, -v93
	v_add_f32_e32 v64, v64, v95
	v_add_f32_e32 v65, v65, v85
	;; [unrolled: 1-line block ×3, first 2 shown]
	v_fmac_f32_e32 v92, 0x3ee1c552, v81
	v_fmac_f32_e32 v89, 0x3ee1c552, v87
	;; [unrolled: 1-line block ×4, first 2 shown]
	v_fma_f32 v94, v84, s3, -v94
	v_add_f32_e32 v69, v69, v95
	v_add_f32_e32 v86, v86, v95
	;; [unrolled: 1-line block ×3, first 2 shown]
	v_fmac_f32_e32 v91, 0x3ee1c552, v87
	v_fmac_f32_e32 v93, 0x3ee1c552, v81
	v_add_f32_e32 v78, v89, v64
	v_sub_f32_e32 v79, v65, v92
	v_add_f32_e32 v83, v90, v100
	v_sub_f32_e32 v85, v100, v90
	v_sub_f32_e32 v89, v64, v89
	v_add_f32_e32 v90, v92, v65
	v_add_f32_e32 v64, v97, v177
	;; [unrolled: 1-line block ×3, first 2 shown]
	v_fmac_f32_e32 v94, 0x3ee1c552, v87
	v_sub_f32_e32 v81, v95, v93
	v_sub_f32_e32 v82, v69, v91
	v_add_f32_e32 v84, v91, v69
	v_add_f32_e32 v87, v93, v95
	;; [unrolled: 1-line block ×3, first 2 shown]
	v_sub_f32_e32 v69, v97, v177
	v_sub_f32_e32 v91, v98, v99
	v_add_f32_e32 v93, v102, v166
	v_sub_f32_e32 v95, v102, v166
	v_add_f32_e32 v97, v103, v162
	v_add_f32_e32 v98, v161, v88
	v_sub_f32_e32 v88, v88, v161
	v_add_f32_e32 v100, v92, v64
	v_add_f32_e32 v80, v94, v86
	v_sub_f32_e32 v86, v86, v94
	v_sub_f32_e32 v94, v101, v165
	;; [unrolled: 1-line block ×3, first 2 shown]
	v_add_f32_e32 v101, v93, v65
	v_sub_f32_e32 v102, v92, v64
	v_sub_f32_e32 v64, v64, v97
	;; [unrolled: 1-line block ×3, first 2 shown]
	v_add_f32_e32 v162, v88, v95
	v_add_f32_e32 v97, v97, v100
	v_mul_f32_e32 v163, v163, v61
	v_sub_f32_e32 v103, v93, v65
	v_sub_f32_e32 v65, v65, v98
	;; [unrolled: 1-line block ×3, first 2 shown]
	v_add_f32_e32 v92, v99, v94
	v_sub_f32_e32 v165, v88, v95
	v_sub_f32_e32 v88, v91, v88
	;; [unrolled: 1-line block ×3, first 2 shown]
	v_add_f32_e32 v98, v98, v101
	v_add_f32_e32 v100, v162, v91
	;; [unrolled: 1-line block ×3, first 2 shown]
	v_fmac_f32_e32 v163, v164, v60
	v_sub_f32_e32 v164, v99, v94
	v_sub_f32_e32 v99, v69, v99
	;; [unrolled: 1-line block ×3, first 2 shown]
	v_add_f32_e32 v69, v92, v69
	v_add_f32_e32 v92, v67, v98
	v_mul_f32_e32 v166, 0xbf08b237, v165
	v_mov_b32_e32 v165, v91
	v_mul_f32_e32 v64, 0x3f4a47b2, v64
	v_mul_f32_e32 v65, 0x3f4a47b2, v65
	v_mul_f32_e32 v66, 0x3d64c772, v161
	v_mul_f32_e32 v67, 0x3d64c772, v93
	v_mul_f32_e32 v162, 0xbf08b237, v164
	v_fmac_f32_e32 v165, 0xbf955555, v97
	v_mov_b32_e32 v97, v92
	v_mul_f32_e32 v164, 0x3f5ff5aa, v95
	v_fmac_f32_e32 v97, 0xbf955555, v98
	v_fma_f32 v66, v102, s1, -v66
	v_fma_f32 v67, v103, s1, -v67
	;; [unrolled: 1-line block ×3, first 2 shown]
	v_fmac_f32_e32 v64, 0x3d64c772, v161
	v_fma_f32 v102, v103, s2, -v65
	v_fmac_f32_e32 v65, 0x3d64c772, v93
	v_fma_f32 v103, v94, s0, -v162
	;; [unrolled: 2-line block ×3, first 2 shown]
	v_fmac_f32_e32 v166, 0x3eae86e6, v88
	v_mul_f32_e32 v101, 0x3f5ff5aa, v94
	v_fma_f32 v88, v88, s3, -v164
	v_add_f32_e32 v64, v64, v165
	v_add_f32_e32 v65, v65, v97
	;; [unrolled: 1-line block ×3, first 2 shown]
	v_fmac_f32_e32 v162, 0x3ee1c552, v69
	v_fmac_f32_e32 v166, 0x3ee1c552, v100
	;; [unrolled: 1-line block ×3, first 2 shown]
	v_fma_f32 v161, v99, s3, -v101
	v_add_f32_e32 v66, v66, v165
	v_add_f32_e32 v164, v98, v165
	v_add_f32_e32 v165, v102, v97
	v_fmac_f32_e32 v95, 0x3ee1c552, v100
	v_fmac_f32_e32 v88, 0x3ee1c552, v100
	v_add_f32_e32 v93, v166, v64
	v_sub_f32_e32 v94, v65, v162
	v_add_f32_e32 v100, v103, v67
	v_sub_f32_e32 v102, v67, v103
	v_sub_f32_e32 v177, v64, v166
	v_add_f32_e32 v178, v162, v65
	v_add_f32_e32 v64, v181, v184
	;; [unrolled: 1-line block ×3, first 2 shown]
	v_sub_f32_e32 v67, v163, v68
	v_add_f32_e32 v68, v182, v188
	v_fmac_f32_e32 v161, 0x3ee1c552, v69
	v_add_f32_e32 v69, v185, v183
	v_add_f32_e32 v103, v186, v180
	;; [unrolled: 1-line block ×3, first 2 shown]
	v_sub_f32_e32 v98, v165, v161
	v_add_f32_e32 v165, v161, v165
	v_add_f32_e32 v161, v179, v187
	v_sub_f32_e32 v162, v180, v186
	v_sub_f32_e32 v163, v187, v179
	v_add_f32_e32 v179, v69, v65
	v_sub_f32_e32 v180, v68, v64
	v_sub_f32_e32 v64, v64, v103
	;; [unrolled: 1-line block ×3, first 2 shown]
	v_add_f32_e32 v103, v103, v166
	v_add_f32_e32 v97, v88, v164
	v_sub_f32_e32 v99, v66, v95
	v_add_f32_e32 v101, v95, v66
	v_sub_f32_e32 v164, v164, v88
	v_sub_f32_e32 v66, v181, v184
	;; [unrolled: 1-line block ×7, first 2 shown]
	v_add_f32_e32 v161, v161, v179
	v_add_f32_e32 v74, v74, v103
	;; [unrolled: 1-line block ×3, first 2 shown]
	v_sub_f32_e32 v184, v162, v88
	v_sub_f32_e32 v185, v163, v95
	;; [unrolled: 1-line block ×3, first 2 shown]
	v_add_f32_e32 v75, v75, v161
	v_mov_b32_e32 v186, v74
	v_add_f32_e32 v182, v162, v88
	v_sub_f32_e32 v163, v67, v163
	v_sub_f32_e32 v88, v88, v66
	v_add_f32_e32 v67, v183, v67
	v_mul_f32_e32 v64, 0x3f4a47b2, v64
	v_mul_f32_e32 v65, 0x3f4a47b2, v65
	;; [unrolled: 1-line block ×7, first 2 shown]
	v_fmac_f32_e32 v186, 0xbf955555, v103
	v_mov_b32_e32 v103, v75
	v_sub_f32_e32 v162, v66, v162
	v_add_f32_e32 v66, v182, v66
	v_mul_f32_e32 v182, 0x3f5ff5aa, v88
	v_fmac_f32_e32 v103, 0xbf955555, v161
	v_fma_f32 v161, v180, s1, -v166
	v_fma_f32 v166, v181, s1, -v179
	v_fma_f32 v179, v180, s2, -v64
	v_fmac_f32_e32 v64, 0x3d64c772, v68
	v_fma_f32 v68, v181, s2, -v65
	v_fmac_f32_e32 v65, 0x3d64c772, v69
	v_fma_f32 v69, v88, s0, -v183
	v_fma_f32 v88, v95, s0, -v184
	v_fmac_f32_e32 v184, 0x3eae86e6, v163
	v_fma_f32 v163, v163, s3, -v185
	v_fmac_f32_e32 v183, 0x3eae86e6, v162
	v_fma_f32 v95, v162, s3, -v182
	v_add_f32_e32 v187, v65, v103
	v_add_f32_e32 v65, v166, v103
	;; [unrolled: 1-line block ×3, first 2 shown]
	v_fmac_f32_e32 v163, 0x3ee1c552, v67
	v_add_f32_e32 v185, v64, v186
	v_add_f32_e32 v64, v161, v186
	;; [unrolled: 1-line block ×3, first 2 shown]
	v_fmac_f32_e32 v183, 0x3ee1c552, v66
	v_fmac_f32_e32 v69, 0x3ee1c552, v66
	;; [unrolled: 1-line block ×4, first 2 shown]
	v_add_f32_e32 v181, v163, v166
	v_sub_f32_e32 v66, v166, v163
	v_lshl_add_u32 v163, v73, 3, v72
	v_fmac_f32_e32 v184, 0x3ee1c552, v67
	v_sub_f32_e32 v161, v64, v88
	v_add_f32_e32 v64, v88, v64
	v_add_f32_e32 v67, v95, v68
	v_add_u32_e32 v88, 0x400, v168
	v_add_u32_e32 v73, 0x800, v163
	v_add_f32_e32 v179, v184, v185
	v_sub_f32_e32 v180, v187, v183
	v_sub_f32_e32 v182, v68, v95
	v_add_f32_e32 v162, v69, v65
	v_sub_f32_e32 v65, v65, v69
	v_sub_f32_e32 v68, v185, v184
	v_add_f32_e32 v69, v183, v187
	ds_write2_b64 v168, v[78:79], v[80:81] offset0:51 offset1:102
	ds_write2_b64 v168, v[82:83], v[84:85] offset0:153 offset1:204
	;; [unrolled: 1-line block ×3, first 2 shown]
	ds_write2_b64 v168, v[76:77], v[91:92] offset1:17
	ds_write_b64 v168, v[74:75] offset:272
	ds_write2_b64 v163, v[93:94], v[179:180] offset0:68 offset1:85
	ds_write2_b64 v163, v[97:98], v[181:182] offset0:119 offset1:136
	;; [unrolled: 1-line block ×6, first 2 shown]
	s_waitcnt lgkmcnt(0)
	s_barrier
	global_load_dwordx2 v[77:78], v[104:105], off offset:2856
	s_add_u32 s0, s16, 0xb28
	s_addc_u32 s1, s17, 0
	global_load_dwordx2 v[81:82], v72, s[0:1] offset:168
	global_load_dwordx2 v[83:84], v72, s[0:1] offset:336
	;; [unrolled: 1-line block ×16, first 2 shown]
	ds_read2_b64 v[73:76], v168 offset1:21
	s_waitcnt vmcnt(16) lgkmcnt(0)
	v_mul_f32_e32 v79, v74, v78
	v_mul_f32_e32 v190, v73, v78
	v_fma_f32 v189, v73, v77, -v79
	v_fmac_f32_e32 v190, v74, v77
	ds_read2_b64 v[77:80], v168 offset0:42 offset1:63
	s_waitcnt vmcnt(15)
	v_mul_f32_e32 v73, v76, v82
	v_mul_f32_e32 v74, v75, v82
	v_fma_f32 v73, v75, v81, -v73
	v_fmac_f32_e32 v74, v76, v81
	ds_write2_b64 v168, v[189:190], v[73:74] offset1:21
	s_waitcnt vmcnt(14) lgkmcnt(1)
	v_mul_f32_e32 v73, v78, v84
	v_fma_f32 v81, v77, v83, -v73
	ds_read2_b64 v[73:76], v168 offset0:84 offset1:105
	v_mul_f32_e32 v82, v77, v84
	v_fmac_f32_e32 v82, v78, v83
	s_waitcnt vmcnt(13)
	v_mul_f32_e32 v77, v80, v86
	v_mul_f32_e32 v78, v79, v86
	v_fma_f32 v77, v79, v85, -v77
	v_fmac_f32_e32 v78, v80, v85
	ds_write2_b64 v168, v[81:82], v[77:78] offset0:42 offset1:63
	s_waitcnt vmcnt(12) lgkmcnt(1)
	v_mul_f32_e32 v77, v74, v90
	v_fma_f32 v81, v73, v89, -v77
	ds_read2_b64 v[77:80], v168 offset0:126 offset1:147
	v_mul_f32_e32 v82, v73, v90
	v_fmac_f32_e32 v82, v74, v89
	s_waitcnt vmcnt(11)
	v_mul_f32_e32 v73, v76, v92
	v_mul_f32_e32 v74, v75, v92
	v_fma_f32 v73, v75, v91, -v73
	v_fmac_f32_e32 v74, v76, v91
	ds_write2_b64 v168, v[81:82], v[73:74] offset0:84 offset1:105
	;; [unrolled: 12-line block ×5, first 2 shown]
	s_waitcnt vmcnt(4) lgkmcnt(1)
	v_mul_f32_e32 v77, v74, v180
	v_fma_f32 v81, v73, v179, -v77
	ds_read2_b64 v[77:80], v96 offset0:38 offset1:59
	v_mul_f32_e32 v82, v73, v180
	v_fmac_f32_e32 v82, v74, v179
	s_waitcnt vmcnt(3)
	v_mul_f32_e32 v73, v76, v182
	v_mul_f32_e32 v74, v75, v182
	v_fma_f32 v73, v75, v181, -v73
	v_fmac_f32_e32 v74, v76, v181
	ds_read_b64 v[75:76], v168 offset:2688
	ds_write2_b64 v88, v[81:82], v[73:74] offset0:124 offset1:145
	s_waitcnt vmcnt(2) lgkmcnt(2)
	v_mul_f32_e32 v73, v78, v184
	v_mul_f32_e32 v74, v77, v184
	v_fma_f32 v73, v77, v183, -v73
	v_fmac_f32_e32 v74, v78, v183
	s_waitcnt vmcnt(1)
	v_mul_f32_e32 v77, v80, v186
	v_mul_f32_e32 v78, v79, v186
	v_fma_f32 v77, v79, v185, -v77
	v_fmac_f32_e32 v78, v80, v185
	ds_write2_b64 v96, v[73:74], v[77:78] offset0:38 offset1:59
	s_waitcnt vmcnt(0) lgkmcnt(2)
	v_mul_f32_e32 v73, v76, v188
	v_mul_f32_e32 v74, v75, v188
	v_fma_f32 v73, v75, v187, -v73
	v_fmac_f32_e32 v74, v76, v187
	ds_write_b64 v168, v[73:74] offset:2688
	s_and_saveexec_b64 s[2:3], vcc
	s_cbranch_execz .LBB0_9
; %bb.8:
	v_mov_b32_e32 v73, s1
	v_add_co_u32_e64 v80, s[0:1], s0, v72
	v_addc_co_u32_e64 v81, s[0:1], 0, v73, s[0:1]
	global_load_dwordx2 v[93:94], v[80:81], off offset:136
	global_load_dwordx2 v[101:102], v[80:81], off offset:304
	;; [unrolled: 1-line block ×16, first 2 shown]
	ds_read2_b64 v[72:75], v168 offset0:17 offset1:38
	ds_read2_b64 v[76:79], v168 offset0:59 offset1:80
	global_load_dwordx2 v[207:208], v[80:81], off offset:2824
	ds_read2_b64 v[80:83], v168 offset0:101 offset1:122
	ds_read2_b64 v[84:87], v168 offset0:143 offset1:164
	;; [unrolled: 1-line block ×5, first 2 shown]
	s_waitcnt vmcnt(16) lgkmcnt(6)
	v_mul_f32_e32 v209, v73, v94
	v_mul_f32_e32 v95, v72, v94
	s_waitcnt vmcnt(15)
	v_mul_f32_e32 v211, v75, v102
	v_mul_f32_e32 v103, v74, v102
	s_waitcnt vmcnt(14) lgkmcnt(5)
	v_mul_f32_e32 v212, v77, v165
	v_mul_f32_e32 v166, v76, v165
	s_waitcnt vmcnt(13)
	v_mul_f32_e32 v213, v79, v182
	v_mul_f32_e32 v210, v78, v182
	s_waitcnt vmcnt(12) lgkmcnt(4)
	v_mul_f32_e32 v214, v81, v184
	v_mul_f32_e32 v182, v80, v184
	s_waitcnt vmcnt(11)
	v_mul_f32_e32 v215, v83, v186
	v_mul_f32_e32 v184, v82, v186
	s_waitcnt vmcnt(10) lgkmcnt(3)
	v_mul_f32_e32 v216, v85, v188
	v_mul_f32_e32 v186, v84, v188
	s_waitcnt vmcnt(9)
	v_mul_f32_e32 v217, v87, v190
	v_mul_f32_e32 v188, v86, v190
	s_waitcnt vmcnt(8) lgkmcnt(2)
	v_mul_f32_e32 v218, v90, v192
	v_mul_f32_e32 v190, v89, v192
	s_waitcnt vmcnt(7)
	v_mul_f32_e32 v219, v92, v194
	v_mul_f32_e32 v192, v91, v194
	s_waitcnt vmcnt(6) lgkmcnt(1)
	v_mul_f32_e32 v220, v98, v196
	v_mul_f32_e32 v194, v97, v196
	s_waitcnt vmcnt(5)
	v_mul_f32_e32 v221, v100, v198
	v_mul_f32_e32 v196, v99, v198
	v_fma_f32 v94, v72, v93, -v209
	v_fmac_f32_e32 v95, v73, v93
	v_fma_f32 v102, v74, v101, -v211
	v_fmac_f32_e32 v103, v75, v101
	;; [unrolled: 2-line block ×12, first 2 shown]
	ds_write2_b64 v168, v[94:95], v[102:103] offset0:17 offset1:38
	ds_write2_b64 v168, v[165:166], v[209:210] offset0:59 offset1:80
	;; [unrolled: 1-line block ×6, first 2 shown]
	ds_read2_b64 v[72:75], v96 offset0:55 offset1:76
	s_waitcnt vmcnt(4) lgkmcnt(7)
	v_mul_f32_e32 v198, v178, v200
	v_mul_f32_e32 v77, v177, v200
	s_waitcnt vmcnt(3)
	v_mul_f32_e32 v78, v180, v202
	v_mul_f32_e32 v79, v179, v202
	v_fma_f32 v76, v177, v199, -v198
	v_fmac_f32_e32 v77, v178, v199
	v_fma_f32 v78, v179, v201, -v78
	v_fmac_f32_e32 v79, v180, v201
	ds_write2_b64 v96, v[76:77], v[78:79] offset0:13 offset1:34
	s_waitcnt vmcnt(2) lgkmcnt(1)
	v_mul_f32_e32 v76, v73, v204
	v_mul_f32_e32 v77, v72, v204
	v_fma_f32 v76, v72, v203, -v76
	v_fmac_f32_e32 v77, v73, v203
	ds_read_b64 v[72:73], v168 offset:2824
	s_waitcnt vmcnt(1)
	v_mul_f32_e32 v78, v75, v206
	v_mul_f32_e32 v79, v74, v206
	v_fma_f32 v78, v74, v205, -v78
	v_fmac_f32_e32 v79, v75, v205
	s_waitcnt vmcnt(0) lgkmcnt(0)
	v_mul_f32_e32 v74, v73, v208
	v_mul_f32_e32 v75, v72, v208
	v_fma_f32 v74, v72, v207, -v74
	v_fmac_f32_e32 v75, v73, v207
	ds_write2_b64 v96, v[76:77], v[78:79] offset0:55 offset1:76
	ds_write_b64 v168, v[74:75] offset:2824
.LBB0_9:
	s_or_b64 exec, exec, s[2:3]
	s_waitcnt lgkmcnt(0)
	s_barrier
	ds_read2_b64 v[100:103], v168 offset1:21
	ds_read2_b64 v[92:95], v168 offset0:42 offset1:63
	ds_read2_b64 v[84:87], v168 offset0:84 offset1:105
	;; [unrolled: 1-line block ×7, first 2 shown]
	ds_read_b64 v[165:166], v168 offset:2688
	s_and_saveexec_b64 s[0:1], vcc
	s_cbranch_execz .LBB0_11
; %bb.10:
	v_lshl_add_u32 v0, v107, 3, v106
	v_add_u32_e32 v1, 0x400, v0
	ds_read_b64 v[161:162], v168 offset:136
	ds_read2_b64 v[64:67], v0 offset0:38 offset1:59
	ds_read2_b64 v[68:71], v0 offset0:80 offset1:101
	;; [unrolled: 1-line block ×6, first 2 shown]
	v_add_u32_e32 v0, 0x800, v0
	ds_read2_b64 v[185:188], v0 offset0:34 offset1:55
	ds_read2_b64 v[0:3], v0 offset0:76 offset1:97
	s_waitcnt lgkmcnt(4)
	v_mov_b32_e32 v246, v183
	s_waitcnt lgkmcnt(3)
	v_mov_b32_e32 v157, v141
	v_mov_b32_e32 v158, v142
	v_mov_b32_e32 v230, v143
	v_mov_b32_e32 v231, v144
	s_waitcnt lgkmcnt(2)
	v_mov_b32_e32 v149, v145
	v_mov_b32_e32 v150, v146
	v_mov_b32_e32 v141, v147
	;; [unrolled: 5-line block ×3, first 2 shown]
	v_mov_b32_e32 v140, v188
	v_mov_b32_e32 v247, v184
	;; [unrolled: 1-line block ×8, first 2 shown]
.LBB0_11:
	s_or_b64 exec, exec, s[0:1]
	v_add_u32_e32 v169, 0x88, v163
	v_add_u32_e32 v160, 0x110, v163
	s_waitcnt lgkmcnt(8)
	v_add_f32_e32 v163, v100, v102
	v_add_f32_e32 v164, v101, v103
	s_waitcnt lgkmcnt(7)
	v_add_f32_e32 v163, v163, v92
	v_add_f32_e32 v164, v164, v93
	v_add_f32_e32 v163, v163, v94
	v_add_f32_e32 v164, v164, v95
	s_waitcnt lgkmcnt(6)
	v_add_f32_e32 v163, v163, v84
	v_add_f32_e32 v164, v164, v85
	v_add_f32_e32 v163, v163, v86
	v_add_f32_e32 v164, v164, v87
	s_waitcnt lgkmcnt(5)
	v_add_f32_e32 v163, v163, v76
	v_add_f32_e32 v164, v164, v77
	v_add_f32_e32 v163, v163, v78
	v_add_f32_e32 v164, v164, v79
	s_waitcnt lgkmcnt(4)
	v_add_f32_e32 v163, v163, v72
	v_add_f32_e32 v164, v164, v73
	v_add_f32_e32 v163, v163, v74
	v_add_f32_e32 v164, v164, v75
	s_waitcnt lgkmcnt(3)
	v_add_f32_e32 v163, v163, v80
	v_add_f32_e32 v164, v164, v81
	v_add_f32_e32 v163, v163, v82
	v_add_f32_e32 v164, v164, v83
	s_waitcnt lgkmcnt(2)
	v_add_f32_e32 v163, v163, v88
	v_add_f32_e32 v164, v164, v89
	v_add_f32_e32 v163, v163, v90
	v_add_f32_e32 v164, v164, v91
	s_waitcnt lgkmcnt(1)
	v_add_f32_e32 v163, v163, v96
	v_add_f32_e32 v164, v164, v97
	v_add_f32_e32 v163, v163, v98
	s_waitcnt lgkmcnt(0)
	v_add_f32_e32 v180, v166, v103
	v_sub_f32_e32 v103, v103, v166
	v_add_f32_e32 v164, v164, v99
	v_add_f32_e32 v163, v163, v165
	;; [unrolled: 1-line block ×3, first 2 shown]
	v_sub_f32_e32 v102, v102, v165
	v_mul_f32_e32 v165, 0xbeb8f4ab, v103
	v_mul_f32_e32 v183, 0xbf2c7751, v103
	;; [unrolled: 1-line block ×8, first 2 shown]
	v_add_f32_e32 v164, v164, v166
	s_mov_b32 s2, 0x3f6eb680
	v_mov_b32_e32 v166, v165
	s_mov_b32 s3, 0x3f3d2fb0
	v_mov_b32_e32 v184, v183
	v_mov_b32_e32 v188, v187
	;; [unrolled: 1-line block ×7, first 2 shown]
	v_fmac_f32_e32 v166, 0x3f6eb680, v179
	v_mul_f32_e32 v181, 0x3f6eb680, v180
	v_fma_f32 v165, v179, s2, -v165
	v_fmac_f32_e32 v184, 0x3f3d2fb0, v179
	v_mul_f32_e32 v185, 0x3f3d2fb0, v180
	v_fma_f32 v183, v179, s3, -v183
	;; [unrolled: 3-line block ×8, first 2 shown]
	v_add_f32_e32 v166, v100, v166
	v_mov_b32_e32 v182, v181
	v_add_f32_e32 v165, v100, v165
	v_add_f32_e32 v184, v100, v184
	v_mov_b32_e32 v186, v185
	v_add_f32_e32 v183, v100, v183
	;; [unrolled: 3-line block ×8, first 2 shown]
	v_add_f32_e32 v103, v99, v93
	v_sub_f32_e32 v93, v93, v99
	v_fmac_f32_e32 v182, 0x3eb8f4ab, v102
	v_fmac_f32_e32 v181, 0xbeb8f4ab, v102
	v_fmac_f32_e32 v186, 0x3f2c7751, v102
	v_fmac_f32_e32 v185, 0xbf2c7751, v102
	v_fmac_f32_e32 v190, 0x3f65296c, v102
	v_fmac_f32_e32 v189, 0xbf65296c, v102
	v_fmac_f32_e32 v194, 0x3f7ee86f, v102
	v_fmac_f32_e32 v193, 0xbf7ee86f, v102
	v_fmac_f32_e32 v198, 0x3f763a35, v102
	v_fmac_f32_e32 v197, 0xbf763a35, v102
	v_fmac_f32_e32 v202, 0x3f4c4adb, v102
	v_fmac_f32_e32 v201, 0xbf4c4adb, v102
	v_fmac_f32_e32 v206, 0x3f06c442, v102
	v_fmac_f32_e32 v205, 0xbf06c442, v102
	v_fmac_f32_e32 v208, 0x3e3c28d5, v102
	v_fmac_f32_e32 v180, 0xbe3c28d5, v102
	v_add_f32_e32 v102, v98, v92
	v_sub_f32_e32 v92, v92, v98
	v_mul_f32_e32 v98, 0xbf2c7751, v93
	v_mov_b32_e32 v99, v98
	v_fmac_f32_e32 v99, 0x3f3d2fb0, v102
	v_add_f32_e32 v99, v99, v166
	v_mul_f32_e32 v166, 0x3f3d2fb0, v103
	v_add_f32_e32 v181, v101, v181
	v_mov_b32_e32 v179, v166
	v_fma_f32 v98, v102, s3, -v98
	v_fmac_f32_e32 v166, 0xbf2c7751, v92
	v_add_f32_e32 v98, v98, v165
	v_add_f32_e32 v165, v166, v181
	v_mul_f32_e32 v166, 0xbf7ee86f, v93
	v_add_f32_e32 v182, v101, v182
	v_add_f32_e32 v186, v101, v186
	;; [unrolled: 1-line block ×15, first 2 shown]
	v_mov_b32_e32 v180, v166
	v_fma_f32 v166, v102, s5, -v166
	v_fmac_f32_e32 v179, 0x3f2c7751, v92
	v_fmac_f32_e32 v180, 0x3dbcf732, v102
	v_mul_f32_e32 v181, 0x3dbcf732, v103
	v_add_f32_e32 v166, v166, v183
	v_mul_f32_e32 v183, 0xbf4c4adb, v93
	v_add_f32_e32 v179, v179, v182
	v_add_f32_e32 v180, v180, v184
	v_mov_b32_e32 v182, v181
	v_fmac_f32_e32 v181, 0xbf7ee86f, v92
	v_mov_b32_e32 v184, v183
	v_fma_f32 v183, v102, s13, -v183
	v_fmac_f32_e32 v182, 0x3f7ee86f, v92
	v_add_f32_e32 v181, v181, v185
	v_fmac_f32_e32 v184, 0xbf1a4643, v102
	v_mul_f32_e32 v185, 0xbf1a4643, v103
	v_add_f32_e32 v183, v183, v187
	v_mul_f32_e32 v187, 0xbe3c28d5, v93
	v_add_f32_e32 v182, v182, v186
	v_add_f32_e32 v184, v184, v188
	v_mov_b32_e32 v186, v185
	v_fmac_f32_e32 v185, 0xbf4c4adb, v92
	v_mov_b32_e32 v188, v187
	v_fma_f32 v187, v102, s15, -v187
	v_fmac_f32_e32 v186, 0x3f4c4adb, v92
	v_add_f32_e32 v185, v185, v189
	;; [unrolled: 12-line block ×4, first 2 shown]
	v_fmac_f32_e32 v196, 0xbe8c1d8e, v102
	v_mul_f32_e32 v197, 0xbe8c1d8e, v103
	v_add_f32_e32 v195, v195, v199
	v_mul_f32_e32 v199, 0x3f65296c, v93
	v_add_f32_e32 v194, v194, v198
	v_add_f32_e32 v196, v196, v200
	v_mov_b32_e32 v198, v197
	v_fmac_f32_e32 v197, 0x3f763a35, v92
	v_mov_b32_e32 v200, v199
	v_fmac_f32_e32 v198, 0xbf763a35, v92
	v_add_f32_e32 v197, v197, v201
	v_fmac_f32_e32 v200, 0x3ee437d1, v102
	v_mul_f32_e32 v201, 0x3ee437d1, v103
	v_mul_f32_e32 v103, 0x3f6eb680, v103
	v_add_f32_e32 v198, v198, v202
	v_add_f32_e32 v200, v200, v204
	v_mov_b32_e32 v202, v201
	v_fma_f32 v199, v102, s4, -v199
	v_mul_f32_e32 v93, 0x3eb8f4ab, v93
	v_mov_b32_e32 v204, v103
	v_fmac_f32_e32 v103, 0x3eb8f4ab, v92
	v_fmac_f32_e32 v202, 0xbf65296c, v92
	v_add_f32_e32 v199, v199, v203
	v_fmac_f32_e32 v201, 0x3f65296c, v92
	v_mov_b32_e32 v203, v93
	v_fmac_f32_e32 v204, 0xbeb8f4ab, v92
	v_fma_f32 v93, v102, s2, -v93
	v_add_f32_e32 v92, v103, v101
	v_add_f32_e32 v101, v97, v95
	v_sub_f32_e32 v95, v95, v97
	v_add_f32_e32 v93, v93, v100
	v_add_f32_e32 v100, v96, v94
	v_sub_f32_e32 v94, v94, v96
	v_mul_f32_e32 v96, 0xbf65296c, v95
	v_mov_b32_e32 v97, v96
	v_fmac_f32_e32 v97, 0x3ee437d1, v100
	v_add_f32_e32 v97, v97, v99
	v_mul_f32_e32 v99, 0x3ee437d1, v101
	v_fmac_f32_e32 v203, 0x3f6eb680, v102
	v_mov_b32_e32 v102, v99
	v_fma_f32 v96, v100, s4, -v96
	v_fmac_f32_e32 v99, 0xbf65296c, v94
	v_add_f32_e32 v96, v96, v98
	v_add_f32_e32 v98, v99, v165
	v_mul_f32_e32 v99, 0xbf4c4adb, v95
	v_mov_b32_e32 v103, v99
	v_fma_f32 v99, v100, s13, -v99
	v_fmac_f32_e32 v102, 0x3f65296c, v94
	v_fmac_f32_e32 v103, 0xbf1a4643, v100
	v_mul_f32_e32 v165, 0xbf1a4643, v101
	v_add_f32_e32 v99, v99, v166
	v_mul_f32_e32 v166, 0x3e3c28d5, v95
	v_add_f32_e32 v102, v102, v179
	v_add_f32_e32 v103, v103, v180
	v_mov_b32_e32 v179, v165
	v_fmac_f32_e32 v165, 0xbf4c4adb, v94
	v_mov_b32_e32 v180, v166
	v_fma_f32 v166, v100, s15, -v166
	v_fmac_f32_e32 v179, 0x3f4c4adb, v94
	v_add_f32_e32 v165, v165, v181
	v_fmac_f32_e32 v180, 0xbf7ba420, v100
	v_mul_f32_e32 v181, 0xbf7ba420, v101
	v_add_f32_e32 v166, v166, v183
	v_mul_f32_e32 v183, 0x3f763a35, v95
	v_add_f32_e32 v179, v179, v182
	v_add_f32_e32 v180, v180, v184
	v_mov_b32_e32 v182, v181
	v_fmac_f32_e32 v181, 0x3e3c28d5, v94
	v_mov_b32_e32 v184, v183
	v_fma_f32 v183, v100, s12, -v183
	v_fmac_f32_e32 v182, 0xbe3c28d5, v94
	v_add_f32_e32 v181, v181, v185
	;; [unrolled: 12-line block ×4, first 2 shown]
	v_fmac_f32_e32 v192, 0x3f6eb680, v100
	v_mul_f32_e32 v193, 0x3f6eb680, v101
	v_add_f32_e32 v191, v191, v195
	v_mul_f32_e32 v195, 0xbf7ee86f, v95
	v_add_f32_e32 v190, v190, v194
	v_add_f32_e32 v192, v192, v196
	v_mov_b32_e32 v194, v193
	v_fmac_f32_e32 v193, 0xbeb8f4ab, v94
	v_mov_b32_e32 v196, v195
	v_fma_f32 v195, v100, s5, -v195
	v_mul_f32_e32 v95, 0xbf06c442, v95
	v_fmac_f32_e32 v194, 0x3eb8f4ab, v94
	v_add_f32_e32 v193, v193, v197
	v_fmac_f32_e32 v196, 0x3dbcf732, v100
	v_mul_f32_e32 v197, 0x3dbcf732, v101
	v_add_f32_e32 v195, v195, v199
	v_mov_b32_e32 v199, v95
	v_mul_f32_e32 v101, 0xbf59a7d5, v101
	v_fma_f32 v95, v100, s14, -v95
	v_add_f32_e32 v194, v194, v198
	v_add_f32_e32 v196, v196, v200
	v_mov_b32_e32 v198, v197
	v_mov_b32_e32 v200, v101
	v_add_f32_e32 v93, v95, v93
	v_add_f32_e32 v95, v91, v85
	v_sub_f32_e32 v85, v85, v91
	v_fmac_f32_e32 v198, 0x3f7ee86f, v94
	v_fmac_f32_e32 v197, 0xbf7ee86f, v94
	;; [unrolled: 1-line block ×4, first 2 shown]
	v_add_f32_e32 v94, v90, v84
	v_sub_f32_e32 v84, v84, v90
	v_mul_f32_e32 v90, 0xbf7ee86f, v85
	v_mov_b32_e32 v91, v90
	v_fmac_f32_e32 v91, 0x3dbcf732, v94
	v_add_f32_e32 v91, v91, v97
	v_mul_f32_e32 v97, 0x3dbcf732, v95
	v_fmac_f32_e32 v199, 0xbf59a7d5, v100
	v_mov_b32_e32 v100, v97
	v_fma_f32 v90, v94, s5, -v90
	v_fmac_f32_e32 v97, 0xbf7ee86f, v84
	v_add_f32_e32 v92, v101, v92
	v_fmac_f32_e32 v100, 0x3f7ee86f, v84
	v_add_f32_e32 v90, v90, v96
	v_add_f32_e32 v96, v97, v98
	v_mul_f32_e32 v97, 0xbe3c28d5, v85
	v_mul_f32_e32 v101, 0xbf7ba420, v95
	v_add_f32_e32 v100, v100, v102
	v_mov_b32_e32 v98, v97
	v_mov_b32_e32 v102, v101
	v_fma_f32 v97, v94, s15, -v97
	v_fmac_f32_e32 v101, 0xbe3c28d5, v84
	v_fmac_f32_e32 v98, 0xbf7ba420, v94
	v_add_f32_e32 v97, v97, v99
	v_add_f32_e32 v99, v101, v165
	v_mul_f32_e32 v101, 0x3f763a35, v85
	v_add_f32_e32 v98, v98, v103
	v_mov_b32_e32 v103, v101
	v_fma_f32 v101, v94, s12, -v101
	v_fmac_f32_e32 v102, 0x3e3c28d5, v84
	v_fmac_f32_e32 v103, 0xbe8c1d8e, v94
	v_mul_f32_e32 v165, 0xbe8c1d8e, v95
	v_add_f32_e32 v101, v101, v166
	v_mul_f32_e32 v166, 0x3eb8f4ab, v85
	v_add_f32_e32 v102, v102, v179
	v_add_f32_e32 v103, v103, v180
	v_mov_b32_e32 v179, v165
	v_fmac_f32_e32 v165, 0x3f763a35, v84
	v_mov_b32_e32 v180, v166
	v_fma_f32 v166, v94, s2, -v166
	v_fmac_f32_e32 v179, 0xbf763a35, v84
	v_add_f32_e32 v165, v165, v181
	v_fmac_f32_e32 v180, 0x3f6eb680, v94
	v_mul_f32_e32 v181, 0x3f6eb680, v95
	v_add_f32_e32 v166, v166, v183
	v_mul_f32_e32 v183, 0xbf65296c, v85
	v_add_f32_e32 v179, v179, v182
	v_add_f32_e32 v180, v180, v184
	v_mov_b32_e32 v182, v181
	v_fmac_f32_e32 v181, 0x3eb8f4ab, v84
	v_mov_b32_e32 v184, v183
	v_fma_f32 v183, v94, s4, -v183
	v_fmac_f32_e32 v182, 0xbeb8f4ab, v84
	v_add_f32_e32 v181, v181, v185
	;; [unrolled: 12-line block ×3, first 2 shown]
	v_fmac_f32_e32 v188, 0xbf59a7d5, v94
	v_mul_f32_e32 v189, 0xbf59a7d5, v95
	v_add_f32_e32 v187, v187, v191
	v_mul_f32_e32 v191, 0x3f4c4adb, v85
	v_add_f32_e32 v186, v186, v190
	v_add_f32_e32 v188, v188, v192
	v_mov_b32_e32 v190, v189
	v_fmac_f32_e32 v189, 0xbf06c442, v84
	v_mov_b32_e32 v192, v191
	v_fma_f32 v191, v94, s13, -v191
	v_mul_f32_e32 v85, 0x3f2c7751, v85
	v_fmac_f32_e32 v190, 0x3f06c442, v84
	v_add_f32_e32 v189, v189, v193
	v_fmac_f32_e32 v192, 0xbf1a4643, v94
	v_mul_f32_e32 v193, 0xbf1a4643, v95
	v_add_f32_e32 v191, v191, v195
	v_mov_b32_e32 v195, v85
	v_mul_f32_e32 v95, 0x3f3d2fb0, v95
	v_fma_f32 v85, v94, s3, -v85
	v_add_f32_e32 v190, v190, v194
	v_add_f32_e32 v192, v192, v196
	v_mov_b32_e32 v194, v193
	v_mov_b32_e32 v196, v95
	v_add_f32_e32 v85, v85, v93
	v_fmac_f32_e32 v95, 0x3f2c7751, v84
	v_add_f32_e32 v93, v89, v87
	v_sub_f32_e32 v87, v87, v89
	v_fmac_f32_e32 v194, 0xbf4c4adb, v84
	v_fmac_f32_e32 v193, 0x3f4c4adb, v84
	;; [unrolled: 1-line block ×3, first 2 shown]
	v_add_f32_e32 v84, v95, v92
	v_add_f32_e32 v92, v88, v86
	v_sub_f32_e32 v86, v86, v88
	v_mul_f32_e32 v88, 0xbf763a35, v87
	v_mov_b32_e32 v89, v88
	v_fmac_f32_e32 v89, 0xbe8c1d8e, v92
	v_add_f32_e32 v89, v89, v91
	v_mul_f32_e32 v91, 0xbe8c1d8e, v93
	v_fmac_f32_e32 v195, 0x3f3d2fb0, v94
	v_mov_b32_e32 v94, v91
	v_fma_f32 v88, v92, s12, -v88
	v_fmac_f32_e32 v91, 0xbf763a35, v86
	v_add_f32_e32 v88, v88, v90
	v_add_f32_e32 v90, v91, v96
	v_mul_f32_e32 v91, 0x3f06c442, v87
	v_mov_b32_e32 v95, v91
	v_fmac_f32_e32 v95, 0xbf59a7d5, v92
	v_mul_f32_e32 v96, 0xbf59a7d5, v93
	v_fma_f32 v91, v92, s14, -v91
	v_add_f32_e32 v95, v95, v98
	v_mov_b32_e32 v98, v96
	v_add_f32_e32 v91, v91, v97
	v_fmac_f32_e32 v96, 0x3f06c442, v86
	v_mul_f32_e32 v97, 0x3f2c7751, v87
	v_fmac_f32_e32 v94, 0x3f763a35, v86
	v_add_f32_e32 v96, v96, v99
	v_mov_b32_e32 v99, v97
	v_fma_f32 v97, v92, s3, -v97
	v_add_f32_e32 v94, v94, v100
	v_fmac_f32_e32 v98, 0xbf06c442, v86
	v_fmac_f32_e32 v99, 0x3f3d2fb0, v92
	v_mul_f32_e32 v100, 0x3f3d2fb0, v93
	v_add_f32_e32 v97, v97, v101
	v_mul_f32_e32 v101, 0xbf65296c, v87
	v_add_f32_e32 v98, v98, v102
	v_add_f32_e32 v99, v99, v103
	v_mov_b32_e32 v102, v100
	v_fmac_f32_e32 v100, 0x3f2c7751, v86
	v_mov_b32_e32 v103, v101
	v_fma_f32 v101, v92, s4, -v101
	v_fmac_f32_e32 v102, 0xbf2c7751, v86
	v_add_f32_e32 v100, v100, v165
	v_fmac_f32_e32 v103, 0x3ee437d1, v92
	v_mul_f32_e32 v165, 0x3ee437d1, v93
	v_add_f32_e32 v101, v101, v166
	v_mul_f32_e32 v166, 0xbe3c28d5, v87
	v_add_f32_e32 v102, v102, v179
	v_add_f32_e32 v103, v103, v180
	v_mov_b32_e32 v179, v165
	v_fmac_f32_e32 v165, 0xbf65296c, v86
	v_mov_b32_e32 v180, v166
	v_fma_f32 v166, v92, s15, -v166
	v_fmac_f32_e32 v179, 0x3f65296c, v86
	v_add_f32_e32 v165, v165, v181
	;; [unrolled: 12-line block ×3, first 2 shown]
	v_fmac_f32_e32 v184, 0x3dbcf732, v92
	v_mul_f32_e32 v185, 0x3dbcf732, v93
	v_add_f32_e32 v183, v183, v187
	v_mul_f32_e32 v187, 0xbeb8f4ab, v87
	v_add_f32_e32 v182, v182, v186
	v_add_f32_e32 v184, v184, v188
	v_mov_b32_e32 v186, v185
	v_fmac_f32_e32 v185, 0x3f7ee86f, v86
	v_mov_b32_e32 v188, v187
	v_fma_f32 v187, v92, s2, -v187
	v_mul_f32_e32 v87, 0xbf4c4adb, v87
	v_fmac_f32_e32 v186, 0xbf7ee86f, v86
	v_add_f32_e32 v185, v185, v189
	v_fmac_f32_e32 v188, 0x3f6eb680, v92
	v_mul_f32_e32 v189, 0x3f6eb680, v93
	v_add_f32_e32 v187, v187, v191
	v_mov_b32_e32 v191, v87
	v_mul_f32_e32 v93, 0xbf1a4643, v93
	v_fma_f32 v87, v92, s13, -v87
	v_add_f32_e32 v186, v186, v190
	v_add_f32_e32 v188, v188, v192
	v_mov_b32_e32 v190, v189
	v_mov_b32_e32 v192, v93
	v_add_f32_e32 v85, v87, v85
	v_add_f32_e32 v87, v83, v77
	v_sub_f32_e32 v77, v77, v83
	v_fmac_f32_e32 v190, 0x3eb8f4ab, v86
	v_fmac_f32_e32 v189, 0xbeb8f4ab, v86
	;; [unrolled: 1-line block ×4, first 2 shown]
	v_add_f32_e32 v86, v82, v76
	v_sub_f32_e32 v76, v76, v82
	v_mul_f32_e32 v82, 0xbf4c4adb, v77
	v_mov_b32_e32 v83, v82
	v_fmac_f32_e32 v83, 0xbf1a4643, v86
	v_add_f32_e32 v83, v83, v89
	v_mul_f32_e32 v89, 0xbf1a4643, v87
	v_fmac_f32_e32 v191, 0xbf1a4643, v92
	v_mov_b32_e32 v92, v89
	v_fma_f32 v82, v86, s13, -v82
	v_fmac_f32_e32 v89, 0xbf4c4adb, v76
	v_add_f32_e32 v84, v93, v84
	v_fmac_f32_e32 v92, 0x3f4c4adb, v76
	v_add_f32_e32 v82, v82, v88
	v_add_f32_e32 v88, v89, v90
	v_mul_f32_e32 v89, 0x3f763a35, v77
	v_mul_f32_e32 v93, 0xbe8c1d8e, v87
	v_add_f32_e32 v92, v92, v94
	v_mov_b32_e32 v90, v89
	v_mov_b32_e32 v94, v93
	v_fma_f32 v89, v86, s12, -v89
	v_fmac_f32_e32 v93, 0x3f763a35, v76
	v_fmac_f32_e32 v90, 0xbe8c1d8e, v86
	v_add_f32_e32 v89, v89, v91
	v_add_f32_e32 v91, v93, v96
	v_mul_f32_e32 v93, 0xbeb8f4ab, v77
	v_add_f32_e32 v90, v90, v95
	v_mov_b32_e32 v95, v93
	v_fma_f32 v93, v86, s2, -v93
	v_fmac_f32_e32 v94, 0xbf763a35, v76
	v_fmac_f32_e32 v95, 0x3f6eb680, v86
	v_mul_f32_e32 v96, 0x3f6eb680, v87
	v_add_f32_e32 v93, v93, v97
	v_mul_f32_e32 v97, 0xbf06c442, v77
	v_add_f32_e32 v94, v94, v98
	v_add_f32_e32 v95, v95, v99
	v_mov_b32_e32 v98, v96
	v_fmac_f32_e32 v96, 0xbeb8f4ab, v76
	v_mov_b32_e32 v99, v97
	v_fma_f32 v97, v86, s14, -v97
	v_fmac_f32_e32 v98, 0x3eb8f4ab, v76
	v_add_f32_e32 v96, v96, v100
	v_fmac_f32_e32 v99, 0xbf59a7d5, v86
	v_mul_f32_e32 v100, 0xbf59a7d5, v87
	v_add_f32_e32 v97, v97, v101
	v_mul_f32_e32 v101, 0x3f7ee86f, v77
	v_add_f32_e32 v98, v98, v102
	v_add_f32_e32 v99, v99, v103
	v_mov_b32_e32 v102, v100
	v_fmac_f32_e32 v100, 0xbf06c442, v76
	v_mov_b32_e32 v103, v101
	v_fma_f32 v101, v86, s5, -v101
	v_fmac_f32_e32 v102, 0x3f06c442, v76
	v_add_f32_e32 v100, v100, v165
	;; [unrolled: 12-line block ×3, first 2 shown]
	v_fmac_f32_e32 v180, 0x3f3d2fb0, v86
	v_mul_f32_e32 v181, 0x3f3d2fb0, v87
	v_add_f32_e32 v166, v166, v183
	v_mul_f32_e32 v183, 0xbe3c28d5, v77
	v_add_f32_e32 v179, v179, v182
	v_add_f32_e32 v180, v180, v184
	v_mov_b32_e32 v182, v181
	v_fmac_f32_e32 v181, 0xbf2c7751, v76
	v_mov_b32_e32 v184, v183
	v_fma_f32 v183, v86, s15, -v183
	v_mul_f32_e32 v77, 0x3f65296c, v77
	v_fmac_f32_e32 v182, 0x3f2c7751, v76
	v_add_f32_e32 v181, v181, v185
	v_fmac_f32_e32 v184, 0xbf7ba420, v86
	v_mul_f32_e32 v185, 0xbf7ba420, v87
	v_add_f32_e32 v183, v183, v187
	v_mov_b32_e32 v187, v77
	v_mul_f32_e32 v87, 0x3ee437d1, v87
	v_fma_f32 v77, v86, s4, -v77
	v_add_f32_e32 v182, v182, v186
	v_add_f32_e32 v184, v184, v188
	v_mov_b32_e32 v186, v185
	v_mov_b32_e32 v188, v87
	v_add_f32_e32 v77, v77, v85
	v_fmac_f32_e32 v87, 0x3f65296c, v76
	v_add_f32_e32 v85, v81, v79
	v_sub_f32_e32 v79, v79, v81
	v_fmac_f32_e32 v186, 0x3e3c28d5, v76
	v_fmac_f32_e32 v185, 0xbe3c28d5, v76
	;; [unrolled: 1-line block ×3, first 2 shown]
	v_add_f32_e32 v76, v87, v84
	v_add_f32_e32 v84, v80, v78
	v_sub_f32_e32 v78, v78, v80
	v_mul_f32_e32 v80, 0xbf06c442, v79
	v_mov_b32_e32 v81, v80
	v_fmac_f32_e32 v81, 0xbf59a7d5, v84
	v_add_f32_e32 v81, v81, v83
	v_mul_f32_e32 v83, 0xbf59a7d5, v85
	v_fmac_f32_e32 v187, 0x3ee437d1, v86
	v_mov_b32_e32 v86, v83
	v_fma_f32 v80, v84, s14, -v80
	v_fmac_f32_e32 v83, 0xbf06c442, v78
	v_add_f32_e32 v80, v80, v82
	v_add_f32_e32 v82, v83, v88
	v_mul_f32_e32 v83, 0x3f65296c, v79
	v_mov_b32_e32 v87, v83
	v_fmac_f32_e32 v87, 0x3ee437d1, v84
	v_mul_f32_e32 v88, 0x3ee437d1, v85
	v_fma_f32 v83, v84, s4, -v83
	v_add_f32_e32 v87, v87, v90
	v_mov_b32_e32 v90, v88
	v_add_f32_e32 v83, v83, v89
	v_fmac_f32_e32 v88, 0x3f65296c, v78
	v_mul_f32_e32 v89, 0xbf7ee86f, v79
	v_fmac_f32_e32 v86, 0x3f06c442, v78
	v_add_f32_e32 v88, v88, v91
	v_mov_b32_e32 v91, v89
	v_fma_f32 v89, v84, s5, -v89
	v_add_f32_e32 v86, v86, v92
	v_fmac_f32_e32 v90, 0xbf65296c, v78
	v_fmac_f32_e32 v91, 0x3dbcf732, v84
	v_mul_f32_e32 v92, 0x3dbcf732, v85
	v_add_f32_e32 v89, v89, v93
	v_mul_f32_e32 v93, 0x3f4c4adb, v79
	v_add_f32_e32 v90, v90, v94
	v_add_f32_e32 v91, v91, v95
	v_mov_b32_e32 v94, v92
	v_fmac_f32_e32 v92, 0xbf7ee86f, v78
	v_mov_b32_e32 v95, v93
	v_fma_f32 v93, v84, s13, -v93
	v_fmac_f32_e32 v94, 0x3f7ee86f, v78
	v_add_f32_e32 v92, v92, v96
	v_fmac_f32_e32 v95, 0xbf1a4643, v84
	v_mul_f32_e32 v96, 0xbf1a4643, v85
	v_add_f32_e32 v93, v93, v97
	v_mul_f32_e32 v97, 0xbeb8f4ab, v79
	v_add_f32_e32 v94, v94, v98
	v_add_f32_e32 v95, v95, v99
	v_mov_b32_e32 v98, v96
	v_fmac_f32_e32 v96, 0x3f4c4adb, v78
	v_mov_b32_e32 v99, v97
	v_fma_f32 v97, v84, s2, -v97
	v_fmac_f32_e32 v98, 0xbf4c4adb, v78
	v_add_f32_e32 v96, v96, v100
	v_fmac_f32_e32 v99, 0x3f6eb680, v84
	v_mul_f32_e32 v100, 0x3f6eb680, v85
	v_add_f32_e32 v97, v97, v101
	v_mul_f32_e32 v101, 0xbe3c28d5, v79
	v_add_f32_e32 v98, v98, v102
	v_add_f32_e32 v99, v99, v103
	v_mov_b32_e32 v102, v100
	v_fmac_f32_e32 v100, 0xbeb8f4ab, v78
	v_mov_b32_e32 v103, v101
	v_fma_f32 v101, v84, s15, -v101
	v_add_f32_e32 v204, v204, v208
	v_fmac_f32_e32 v102, 0x3eb8f4ab, v78
	v_add_f32_e32 v100, v100, v165
	v_fmac_f32_e32 v103, 0xbf7ba420, v84
	v_mul_f32_e32 v165, 0xbf7ba420, v85
	v_add_f32_e32 v101, v101, v166
	v_mul_f32_e32 v166, 0x3f2c7751, v79
	v_add_f32_e32 v202, v202, v206
	v_add_f32_e32 v203, v203, v207
	v_add_f32_e32 v200, v200, v204
	v_add_f32_e32 v102, v102, v179
	v_add_f32_e32 v103, v103, v180
	v_mov_b32_e32 v179, v165
	v_fmac_f32_e32 v165, 0xbe3c28d5, v78
	v_mov_b32_e32 v180, v166
	v_add_f32_e32 v201, v201, v205
	v_add_f32_e32 v198, v198, v202
	;; [unrolled: 1-line block ×5, first 2 shown]
	v_fmac_f32_e32 v180, 0x3f3d2fb0, v84
	v_mul_f32_e32 v181, 0x3f3d2fb0, v85
	v_mul_f32_e32 v85, 0xbe8c1d8e, v85
	v_add_f32_e32 v197, v197, v201
	v_add_f32_e32 v194, v194, v198
	;; [unrolled: 1-line block ×5, first 2 shown]
	v_fma_f32 v166, v84, s3, -v166
	v_mul_f32_e32 v79, 0xbf763a35, v79
	v_mov_b32_e32 v184, v85
	v_add_f32_e32 v193, v193, v197
	v_add_f32_e32 v190, v190, v194
	;; [unrolled: 1-line block ×4, first 2 shown]
	v_fmac_f32_e32 v179, 0x3e3c28d5, v78
	v_add_f32_e32 v166, v166, v183
	v_mov_b32_e32 v183, v79
	v_fmac_f32_e32 v184, 0x3f763a35, v78
	v_add_f32_e32 v189, v189, v193
	v_add_f32_e32 v186, v186, v190
	;; [unrolled: 1-line block ×4, first 2 shown]
	v_mov_b32_e32 v182, v181
	v_fmac_f32_e32 v183, 0xbe8c1d8e, v84
	v_add_f32_e32 v184, v184, v188
	v_add_f32_e32 v188, v75, v73
	v_sub_f32_e32 v190, v73, v75
	v_add_f32_e32 v185, v185, v189
	v_fmac_f32_e32 v182, 0xbf2c7751, v78
	v_fmac_f32_e32 v181, 0x3f2c7751, v78
	v_add_f32_e32 v183, v183, v187
	v_fmac_f32_e32 v85, 0xbf763a35, v78
	v_add_f32_e32 v187, v74, v72
	v_sub_f32_e32 v189, v72, v74
	v_mul_f32_e32 v74, 0xbe3c28d5, v190
	v_mul_f32_e32 v75, 0xbf7ba420, v188
	;; [unrolled: 1-line block ×3, first 2 shown]
	v_add_f32_e32 v182, v182, v186
	v_fma_f32 v79, v84, s12, -v79
	v_add_f32_e32 v186, v85, v76
	v_mov_b32_e32 v72, v74
	v_mov_b32_e32 v73, v75
	v_fmac_f32_e32 v75, 0xbe3c28d5, v189
	v_mov_b32_e32 v76, v78
	v_fma_f32 v78, v187, s2, -v78
	v_add_f32_e32 v181, v181, v185
	v_add_f32_e32 v185, v79, v77
	v_fmac_f32_e32 v72, 0xbf7ba420, v187
	v_fma_f32 v74, v187, s15, -v74
	v_add_f32_e32 v75, v75, v82
	v_mul_f32_e32 v79, 0x3f6eb680, v188
	v_add_f32_e32 v78, v78, v83
	v_mul_f32_e32 v82, 0xbf06c442, v190
	v_mul_f32_e32 v83, 0xbf59a7d5, v188
	v_add_f32_e32 v72, v72, v81
	v_add_f32_e32 v74, v74, v80
	v_mov_b32_e32 v77, v79
	v_mov_b32_e32 v80, v82
	;; [unrolled: 1-line block ×3, first 2 shown]
	v_fmac_f32_e32 v73, 0x3e3c28d5, v189
	v_fmac_f32_e32 v76, 0x3f6eb680, v187
	;; [unrolled: 1-line block ×5, first 2 shown]
	v_add_f32_e32 v73, v73, v86
	v_add_f32_e32 v76, v76, v87
	;; [unrolled: 1-line block ×3, first 2 shown]
	v_fmac_f32_e32 v79, 0x3eb8f4ab, v189
	v_add_f32_e32 v80, v80, v91
	v_add_f32_e32 v81, v81, v94
	v_fma_f32 v82, v187, s14, -v82
	v_fmac_f32_e32 v83, 0xbf06c442, v189
	v_mul_f32_e32 v86, 0x3f2c7751, v190
	v_mul_f32_e32 v87, 0x3f3d2fb0, v188
	;; [unrolled: 1-line block ×5, first 2 shown]
	v_add_f32_e32 v79, v79, v88
	v_add_f32_e32 v82, v82, v89
	;; [unrolled: 1-line block ×3, first 2 shown]
	v_mov_b32_e32 v84, v86
	v_mov_b32_e32 v85, v87
	;; [unrolled: 1-line block ×5, first 2 shown]
	v_fmac_f32_e32 v84, 0x3f3d2fb0, v187
	v_fmac_f32_e32 v85, 0xbf2c7751, v189
	;; [unrolled: 1-line block ×5, first 2 shown]
	v_add_f32_e32 v84, v84, v95
	v_add_f32_e32 v85, v85, v98
	v_fma_f32 v86, v187, s3, -v86
	v_fmac_f32_e32 v87, 0x3f2c7751, v189
	v_add_f32_e32 v88, v88, v99
	v_add_f32_e32 v89, v89, v102
	v_fma_f32 v90, v187, s13, -v90
	v_fmac_f32_e32 v91, 0xbf4c4adb, v189
	v_add_f32_e32 v92, v92, v103
	v_mul_f32_e32 v95, 0x3ee437d1, v188
	v_fma_f32 v94, v187, s4, -v94
	v_mul_f32_e32 v98, 0xbf763a35, v190
	v_mul_f32_e32 v99, 0xbe8c1d8e, v188
	;; [unrolled: 1-line block ×4, first 2 shown]
	v_add_f32_e32 v86, v86, v93
	v_add_f32_e32 v87, v87, v96
	;; [unrolled: 1-line block ×4, first 2 shown]
	v_mov_b32_e32 v93, v95
	v_add_f32_e32 v94, v94, v101
	v_mov_b32_e32 v96, v98
	v_mov_b32_e32 v97, v99
	v_mov_b32_e32 v100, v102
	v_mov_b32_e32 v101, v103
	v_fmac_f32_e32 v93, 0xbf65296c, v189
	v_fmac_f32_e32 v95, 0x3f65296c, v189
	v_fmac_f32_e32 v96, 0xbe8c1d8e, v187
	v_fmac_f32_e32 v97, 0x3f763a35, v189
	v_fma_f32 v98, v187, s12, -v98
	v_fmac_f32_e32 v99, 0xbf763a35, v189
	v_fmac_f32_e32 v100, 0x3dbcf732, v187
	;; [unrolled: 1-line block ×3, first 2 shown]
	v_fma_f32 v102, v187, s5, -v102
	v_fmac_f32_e32 v103, 0x3f7ee86f, v189
	v_add_f32_e32 v93, v93, v179
	v_add_f32_e32 v95, v95, v165
	;; [unrolled: 1-line block ×10, first 2 shown]
	s_barrier
	ds_write2_b64 v176, v[163:164], v[72:73] offset1:1
	ds_write2_b64 v176, v[76:77], v[80:81] offset0:2 offset1:3
	ds_write2_b64 v176, v[84:85], v[88:89] offset0:4 offset1:5
	;; [unrolled: 1-line block ×7, first 2 shown]
	ds_write_b64 v176, v[74:75] offset:128
	s_and_saveexec_b64 s[0:1], vcc
	s_cbranch_execz .LBB0_13
; %bb.12:
	v_add_f32_e32 v196, v3, v65
	v_mul_f32_e32 v100, 0xbf7ba420, v196
	v_add_f32_e32 v197, v1, v67
	v_sub_f32_e32 v84, v64, v2
	v_mov_b32_e32 v72, v100
	v_mul_f32_e32 v101, 0x3f6eb680, v197
	v_fmac_f32_e32 v72, 0x3e3c28d5, v84
	v_sub_f32_e32 v85, v66, v0
	v_mov_b32_e32 v73, v101
	v_add_f32_e32 v198, v140, v69
	v_add_f32_e32 v72, v162, v72
	v_fmac_f32_e32 v73, 0xbeb8f4ab, v85
	v_mul_f32_e32 v102, 0xbf59a7d5, v198
	v_add_f32_e32 v72, v73, v72
	v_sub_f32_e32 v86, v68, v139
	v_mov_b32_e32 v73, v102
	v_add_f32_e32 v199, v144, v71
	v_fmac_f32_e32 v73, 0x3f06c442, v86
	v_mul_f32_e32 v103, 0x3f3d2fb0, v199
	v_add_f32_e32 v72, v73, v72
	v_sub_f32_e32 v87, v70, v143
	v_mov_b32_e32 v73, v103
	;; [unrolled: 6-line block ×6, first 2 shown]
	v_fmac_f32_e32 v73, 0xbf7ee86f, v91
	v_sub_f32_e32 v204, v65, v3
	v_add_f32_e32 v73, v73, v72
	v_add_f32_e32 v92, v2, v64
	v_mul_f32_e32 v72, 0xbe3c28d5, v204
	v_sub_f32_e32 v205, v67, v1
	buffer_store_dword v72, off, s[20:23], 0 offset:72 ; 4-byte Folded Spill
	v_fmac_f32_e32 v72, 0xbf7ba420, v92
	v_add_f32_e32 v93, v0, v66
	v_mul_f32_e32 v74, 0x3eb8f4ab, v205
	v_add_f32_e32 v72, v161, v72
	buffer_store_dword v74, off, s[20:23], 0 offset:76 ; 4-byte Folded Spill
	v_fmac_f32_e32 v74, 0x3f6eb680, v93
	v_sub_f32_e32 v206, v69, v140
	v_add_f32_e32 v72, v74, v72
	v_add_f32_e32 v94, v139, v68
	v_mul_f32_e32 v74, 0xbf06c442, v206
	buffer_store_dword v74, off, s[20:23], 0 offset:80 ; 4-byte Folded Spill
	v_fmac_f32_e32 v74, 0xbf59a7d5, v94
	v_sub_f32_e32 v207, v71, v144
	v_add_f32_e32 v72, v74, v72
	v_add_f32_e32 v95, v143, v70
	v_mul_f32_e32 v74, 0x3f2c7751, v207
	;; [unrolled: 6-line block ×6, first 2 shown]
	buffer_store_dword v74, off, s[20:23], 0 offset:100 ; 4-byte Folded Spill
	v_fmac_f32_e32 v74, 0x3dbcf732, v99
	v_mul_f32_e32 v186, 0xbf59a7d5, v196
	v_add_f32_e32 v72, v74, v72
	v_mov_b32_e32 v74, v186
	v_mul_f32_e32 v187, 0x3ee437d1, v197
	v_fmac_f32_e32 v74, 0x3f06c442, v84
	v_mov_b32_e32 v75, v187
	v_add_f32_e32 v74, v162, v74
	v_fmac_f32_e32 v75, 0xbf65296c, v85
	v_mul_f32_e32 v188, 0x3dbcf732, v198
	v_add_f32_e32 v74, v75, v74
	v_mov_b32_e32 v75, v188
	v_fmac_f32_e32 v75, 0x3f7ee86f, v86
	v_mul_f32_e32 v189, 0xbf1a4643, v199
	v_add_f32_e32 v74, v75, v74
	v_mov_b32_e32 v75, v189
	;; [unrolled: 4-line block ×6, first 2 shown]
	buffer_store_dword v72, off, s[20:23], 0 offset:32 ; 4-byte Folded Spill
	s_nop 0
	buffer_store_dword v73, off, s[20:23], 0 offset:36 ; 4-byte Folded Spill
	v_fmac_f32_e32 v75, 0x3f763a35, v91
	v_add_f32_e32 v73, v75, v74
	v_mul_f32_e32 v74, 0xbf06c442, v204
	buffer_store_dword v74, off, s[20:23], 0 offset:108 ; 4-byte Folded Spill
	v_fmac_f32_e32 v74, 0xbf59a7d5, v92
	v_mul_f32_e32 v76, 0x3f65296c, v205
	v_add_f32_e32 v74, v161, v74
	buffer_store_dword v76, off, s[20:23], 0 offset:112 ; 4-byte Folded Spill
	v_fmac_f32_e32 v76, 0x3ee437d1, v93
	v_add_f32_e32 v74, v76, v74
	v_mul_f32_e32 v76, 0xbf7ee86f, v206
	buffer_store_dword v76, off, s[20:23], 0 offset:116 ; 4-byte Folded Spill
	v_fmac_f32_e32 v76, 0x3dbcf732, v94
	v_add_f32_e32 v74, v76, v74
	v_mul_f32_e32 v76, 0x3f4c4adb, v207
	buffer_store_dword v76, off, s[20:23], 0 offset:120 ; 4-byte Folded Spill
	v_fmac_f32_e32 v76, 0xbf1a4643, v95
	v_add_f32_e32 v74, v76, v74
	v_mul_f32_e32 v76, 0xbeb8f4ab, v208
	buffer_store_dword v76, off, s[20:23], 0 offset:124 ; 4-byte Folded Spill
	v_fmac_f32_e32 v76, 0x3f6eb680, v96
	v_add_f32_e32 v74, v76, v74
	v_mul_f32_e32 v76, 0xbe3c28d5, v209
	buffer_store_dword v76, off, s[20:23], 0 offset:128 ; 4-byte Folded Spill
	v_fmac_f32_e32 v76, 0xbf7ba420, v97
	v_add_f32_e32 v74, v76, v74
	v_mul_f32_e32 v76, 0x3f2c7751, v210
	buffer_store_dword v76, off, s[20:23], 0 offset:132 ; 4-byte Folded Spill
	v_fmac_f32_e32 v76, 0x3f3d2fb0, v98
	v_add_f32_e32 v74, v76, v74
	v_mul_f32_e32 v76, 0xbf763a35, v211
	buffer_store_dword v76, off, s[20:23], 0 offset:136 ; 4-byte Folded Spill
	v_fmac_f32_e32 v76, 0xbe8c1d8e, v99
	v_mul_f32_e32 v220, 0xbf1a4643, v196
	v_add_f32_e32 v72, v76, v74
	v_mov_b32_e32 v76, v220
	v_mul_f32_e32 v221, 0xbe8c1d8e, v197
	v_fmac_f32_e32 v76, 0x3f4c4adb, v84
	v_mov_b32_e32 v77, v221
	v_add_f32_e32 v76, v162, v76
	v_fmac_f32_e32 v77, 0xbf763a35, v85
	v_mul_f32_e32 v222, 0x3f6eb680, v198
	v_add_f32_e32 v76, v77, v76
	v_mov_b32_e32 v77, v222
	v_fmac_f32_e32 v77, 0x3eb8f4ab, v86
	v_mul_f32_e32 v223, 0xbf59a7d5, v199
	v_add_f32_e32 v76, v77, v76
	v_mov_b32_e32 v77, v223
	;; [unrolled: 4-line block ×6, first 2 shown]
	buffer_store_dword v72, off, s[20:23], 0 offset:40 ; 4-byte Folded Spill
	s_nop 0
	buffer_store_dword v73, off, s[20:23], 0 offset:44 ; 4-byte Folded Spill
	buffer_store_dword v159, off, s[20:23], 0 offset:20 ; 4-byte Folded Spill
	;; [unrolled: 1-line block ×3, first 2 shown]
	v_mov_b32_e32 v160, v3
	v_fmac_f32_e32 v77, 0xbf65296c, v91
	v_mov_b32_e32 v159, v2
	v_add_f32_e32 v3, v77, v76
	v_mul_f32_e32 v76, 0xbf4c4adb, v204
	buffer_store_dword v76, off, s[20:23], 0 offset:140 ; 4-byte Folded Spill
	v_fmac_f32_e32 v76, 0xbf1a4643, v92
	v_mul_f32_e32 v78, 0x3f763a35, v205
	v_add_f32_e32 v76, v161, v76
	buffer_store_dword v78, off, s[20:23], 0 offset:144 ; 4-byte Folded Spill
	v_fmac_f32_e32 v78, 0xbe8c1d8e, v93
	v_add_f32_e32 v76, v78, v76
	v_mul_f32_e32 v78, 0xbeb8f4ab, v206
	buffer_store_dword v78, off, s[20:23], 0 offset:148 ; 4-byte Folded Spill
	v_fmac_f32_e32 v78, 0x3f6eb680, v94
	v_add_f32_e32 v76, v78, v76
	v_mul_f32_e32 v78, 0xbf06c442, v207
	;; [unrolled: 4-line block ×6, first 2 shown]
	buffer_store_dword v78, off, s[20:23], 0 offset:168 ; 4-byte Folded Spill
	v_fmac_f32_e32 v78, 0x3ee437d1, v99
	v_mul_f32_e32 v236, 0xbe8c1d8e, v196
	v_add_f32_e32 v2, v78, v76
	v_mov_b32_e32 v78, v236
	v_mul_f32_e32 v237, 0xbf59a7d5, v197
	v_fmac_f32_e32 v78, 0x3f763a35, v84
	v_mov_b32_e32 v79, v237
	v_add_f32_e32 v78, v162, v78
	v_fmac_f32_e32 v79, 0xbf06c442, v85
	v_mul_f32_e32 v238, 0x3f3d2fb0, v198
	v_add_f32_e32 v78, v79, v78
	v_mov_b32_e32 v79, v238
	v_fmac_f32_e32 v79, 0xbf2c7751, v86
	v_mul_f32_e32 v239, 0x3ee437d1, v199
	v_add_f32_e32 v78, v79, v78
	v_mov_b32_e32 v79, v239
	;; [unrolled: 4-line block ×6, first 2 shown]
	buffer_store_dword v2, off, s[20:23], 0 offset:48 ; 4-byte Folded Spill
	s_nop 0
	buffer_store_dword v3, off, s[20:23], 0 offset:52 ; 4-byte Folded Spill
	v_fmac_f32_e32 v79, 0x3f4c4adb, v91
	v_add_f32_e32 v3, v79, v78
	v_mul_f32_e32 v78, 0xbf763a35, v204
	v_mul_f32_e32 v218, 0x3f06c442, v205
	buffer_store_dword v78, off, s[20:23], 0 offset:172 ; 4-byte Folded Spill
	v_fmac_f32_e32 v78, 0xbe8c1d8e, v92
	v_mov_b32_e32 v80, v218
	v_add_f32_e32 v78, v161, v78
	v_fmac_f32_e32 v80, 0xbf59a7d5, v93
	v_mul_f32_e32 v216, 0x3f2c7751, v206
	v_add_f32_e32 v78, v80, v78
	v_mov_b32_e32 v80, v216
	v_fmac_f32_e32 v80, 0x3f3d2fb0, v94
	v_add_f32_e32 v78, v80, v78
	v_mul_f32_e32 v80, 0xbf65296c, v207
	buffer_store_dword v80, off, s[20:23], 0 offset:176 ; 4-byte Folded Spill
	v_fmac_f32_e32 v80, 0x3ee437d1, v95
	v_add_f32_e32 v78, v80, v78
	v_mul_f32_e32 v80, 0xbe3c28d5, v208
	buffer_store_dword v80, off, s[20:23], 0 offset:180 ; 4-byte Folded Spill
	;; [unrolled: 4-line block ×3, first 2 shown]
	v_fmac_f32_e32 v80, 0x3dbcf732, v97
	v_mul_f32_e32 v212, 0xbeb8f4ab, v210
	v_add_f32_e32 v78, v80, v78
	v_mov_b32_e32 v80, v212
	v_fmac_f32_e32 v80, 0x3f6eb680, v98
	v_add_f32_e32 v78, v80, v78
	v_mul_f32_e32 v80, 0xbf4c4adb, v211
	buffer_store_dword v80, off, s[20:23], 0 offset:188 ; 4-byte Folded Spill
	v_fmac_f32_e32 v80, 0xbf1a4643, v99
	v_mul_f32_e32 v252, 0x3dbcf732, v196
	v_add_f32_e32 v2, v80, v78
	v_mov_b32_e32 v80, v252
	v_mul_f32_e32 v253, 0xbf7ba420, v197
	v_fmac_f32_e32 v80, 0x3f7ee86f, v84
	v_mov_b32_e32 v81, v253
	v_add_f32_e32 v80, v162, v80
	v_fmac_f32_e32 v81, 0x3e3c28d5, v85
	v_mul_f32_e32 v254, 0xbe8c1d8e, v198
	v_add_f32_e32 v80, v81, v80
	v_mov_b32_e32 v81, v254
	v_fmac_f32_e32 v81, 0xbf763a35, v86
	v_mul_f32_e32 v255, 0x3f6eb680, v199
	v_add_f32_e32 v80, v81, v80
	v_mov_b32_e32 v81, v255
	;; [unrolled: 4-line block ×6, first 2 shown]
	buffer_store_dword v2, off, s[20:23], 0 offset:56 ; 4-byte Folded Spill
	s_nop 0
	buffer_store_dword v3, off, s[20:23], 0 offset:60 ; 4-byte Folded Spill
	v_fmac_f32_e32 v81, 0xbf2c7751, v91
	v_mul_f32_e32 v185, 0xbf7ee86f, v204
	v_add_f32_e32 v3, v81, v80
	v_mov_b32_e32 v80, v185
	v_mul_f32_e32 v183, 0xbe3c28d5, v205
	v_fmac_f32_e32 v80, 0x3dbcf732, v92
	v_mov_b32_e32 v82, v183
	v_add_f32_e32 v80, v161, v80
	v_fmac_f32_e32 v82, 0xbf7ba420, v93
	v_mul_f32_e32 v219, 0x3f763a35, v206
	v_add_f32_e32 v80, v82, v80
	v_mov_b32_e32 v82, v219
	v_fmac_f32_e32 v82, 0xbe8c1d8e, v94
	v_mul_f32_e32 v217, 0x3eb8f4ab, v207
	v_add_f32_e32 v80, v82, v80
	v_mov_b32_e32 v82, v217
	v_fmac_f32_e32 v82, 0x3f6eb680, v95
	v_mul_f32_e32 v184, 0xbf65296c, v208
	v_add_f32_e32 v80, v82, v80
	v_mov_b32_e32 v82, v184
	v_mul_f32_e32 v74, 0xbf06c442, v209
	v_fmac_f32_e32 v82, 0x3ee437d1, v96
	v_mov_b32_e32 v73, v74
	v_add_f32_e32 v80, v82, v80
	v_fmac_f32_e32 v73, 0xbf59a7d5, v97
	v_mul_f32_e32 v215, 0x3f4c4adb, v210
	v_add_f32_e32 v73, v73, v80
	v_mov_b32_e32 v80, v215
	v_fmac_f32_e32 v80, 0xbf1a4643, v98
	buffer_store_dword v107, off, s[20:23], 0 offset:8 ; 4-byte Folded Spill
	v_mul_f32_e32 v107, 0x3f2c7751, v211
	v_add_f32_e32 v73, v80, v73
	v_mov_b32_e32 v80, v107
	v_fmac_f32_e32 v80, 0x3f3d2fb0, v99
	v_add_f32_e32 v2, v80, v73
	buffer_store_dword v2, off, s[20:23], 0 offset:64 ; 4-byte Folded Spill
	s_nop 0
	buffer_store_dword v3, off, s[20:23], 0 offset:68 ; 4-byte Folded Spill
	v_add_f32_e32 v65, v65, v162
	v_mov_b32_e32 v182, v126
	v_mov_b32_e32 v126, v155
	;; [unrolled: 1-line block ×4, first 2 shown]
	v_add_f32_e32 v65, v67, v65
	v_mov_b32_e32 v155, v149
	v_mov_b32_e32 v150, v71
	v_add_f32_e32 v65, v69, v65
	v_add_f32_e32 v65, v150, v65
	v_add_f32_e32 v3, v64, v161
	v_add_f32_e32 v65, v146, v65
	v_add_f32_e32 v3, v66, v3
	v_mov_b32_e32 v149, v70
	v_add_f32_e32 v65, v148, v65
	v_add_f32_e32 v3, v68, v3
	;; [unrolled: 1-line block ×10, first 2 shown]
	v_fmac_f32_e32 v100, 0xbe3c28d5, v84
	v_add_f32_e32 v65, v156, v65
	v_mov_b32_e32 v156, v2
	v_add_f32_e32 v3, v246, v3
	v_add_f32_e32 v2, v162, v100
	v_fmac_f32_e32 v101, 0x3eb8f4ab, v85
	v_add_f32_e32 v3, v157, v3
	v_add_f32_e32 v2, v101, v2
	v_fmac_f32_e32 v102, 0xbf06c442, v86
	;; [unrolled: 3-line block ×5, first 2 shown]
	v_mov_b32_e32 v70, v139
	v_add_f32_e32 v3, v143, v3
	v_add_f32_e32 v2, v164, v2
	v_fmac_f32_e32 v165, 0xbf763a35, v90
	buffer_store_dword v106, off, s[20:23], 0 offset:104 ; 4-byte Folded Spill
	buffer_store_dword v169, off, s[20:23], 0 offset:28 ; 4-byte Folded Spill
	;; [unrolled: 1-line block ×4, first 2 shown]
	v_add_f32_e32 v3, v70, v3
	v_add_f32_e32 v2, v165, v2
	v_fmac_f32_e32 v166, 0x3f7ee86f, v91
	v_add_f32_e32 v0, v0, v3
	v_add_f32_e32 v3, v166, v2
	buffer_load_dword v2, off, s[20:23], 0 offset:72 ; 4-byte Folded Reload
	buffer_load_dword v64, off, s[20:23], 0 offset:76 ; 4-byte Folded Reload
	;; [unrolled: 1-line block ×3, first 2 shown]
	v_mul_f32_e32 v73, 0x3ee437d1, v196
	v_mov_b32_e32 v179, v109
	v_mov_b32_e32 v82, v73
	;; [unrolled: 1-line block ×3, first 2 shown]
	v_mul_f32_e32 v108, 0xbf1a4643, v197
	v_fmac_f32_e32 v82, 0x3f65296c, v84
	v_mov_b32_e32 v83, v108
	v_add_f32_e32 v82, v162, v82
	v_fmac_f32_e32 v83, 0x3f4c4adb, v85
	v_mul_f32_e32 v109, 0xbf7ba420, v198
	v_add_f32_e32 v82, v83, v82
	v_mov_b32_e32 v83, v109
	v_mov_b32_e32 v177, v111
	v_fmac_f32_e32 v83, 0xbe3c28d5, v86
	v_mov_b32_e32 v176, v110
	v_mul_f32_e32 v110, 0xbe8c1d8e, v199
	v_add_f32_e32 v82, v83, v82
	v_mov_b32_e32 v83, v110
	v_fmac_f32_e32 v83, 0xbf763a35, v87
	v_mul_f32_e32 v111, 0x3f3d2fb0, v200
	v_add_f32_e32 v82, v83, v82
	v_mov_b32_e32 v83, v111
	v_mov_b32_e32 v80, v112
	v_fmac_f32_e32 v73, 0xbf65296c, v84
	v_fmac_f32_e32 v83, 0xbf2c7751, v88
	v_mov_b32_e32 v81, v113
	v_mul_f32_e32 v112, 0x3f6eb680, v201
	v_add_f32_e32 v73, v162, v73
	v_fmac_f32_e32 v108, 0xbf4c4adb, v85
	v_add_f32_e32 v82, v83, v82
	v_mov_b32_e32 v83, v112
	v_add_f32_e32 v73, v108, v73
	v_fmac_f32_e32 v109, 0x3e3c28d5, v86
	v_fmac_f32_e32 v83, 0x3eb8f4ab, v89
	v_mul_f32_e32 v113, 0x3dbcf732, v202
	v_add_f32_e32 v73, v109, v73
	v_fmac_f32_e32 v110, 0x3f763a35, v87
	v_add_f32_e32 v82, v83, v82
	v_mov_b32_e32 v83, v113
	v_mov_b32_e32 v181, v115
	v_add_f32_e32 v65, v142, v65
	v_add_f32_e32 v73, v110, v73
	v_fmac_f32_e32 v111, 0x3f2c7751, v88
	v_fmac_f32_e32 v83, 0x3f7ee86f, v90
	v_mov_b32_e32 v180, v114
	v_mul_f32_e32 v114, 0xbf59a7d5, v203
	v_mov_b32_e32 v71, v140
	v_add_f32_e32 v65, v144, v65
	v_add_f32_e32 v73, v111, v73
	v_fmac_f32_e32 v112, 0xbeb8f4ab, v89
	v_add_f32_e32 v82, v83, v82
	v_mov_b32_e32 v83, v114
	v_add_f32_e32 v65, v71, v65
	v_add_f32_e32 v73, v112, v73
	v_fmac_f32_e32 v113, 0xbf7ee86f, v90
	v_fmac_f32_e32 v83, 0x3f06c442, v91
	v_mul_f32_e32 v169, 0xbf65296c, v204
	v_add_f32_e32 v1, v1, v65
	v_add_f32_e32 v73, v113, v73
	v_fmac_f32_e32 v114, 0xbf06c442, v91
	v_add_f32_e32 v83, v83, v82
	v_mov_b32_e32 v82, v169
	v_add_f32_e32 v1, v160, v1
	buffer_load_dword v160, off, s[20:23], 0 offset:24 ; 4-byte Folded Reload
	v_add_f32_e32 v101, v114, v73
	v_fma_f32 v73, v92, s4, -v169
	buffer_load_dword v169, off, s[20:23], 0 offset:28 ; 4-byte Folded Reload
	buffer_load_dword v68, off, s[20:23], 0 offset:144 ; 4-byte Folded Reload
	v_fmac_f32_e32 v186, 0xbf06c442, v84
	v_fmac_f32_e32 v187, 0x3f65296c, v85
	;; [unrolled: 1-line block ×9, first 2 shown]
	s_waitcnt vmcnt(5)
	v_fma_f32 v2, v92, s15, -v2
	v_add_f32_e32 v2, v161, v2
	s_waitcnt vmcnt(4)
	v_fma_f32 v64, v93, s2, -v64
	v_add_f32_e32 v2, v64, v2
	buffer_load_dword v64, off, s[20:23], 0 offset:80 ; 4-byte Folded Reload
	s_waitcnt vmcnt(4)
	v_fma_f32 v66, v93, s4, -v66
	v_fmac_f32_e32 v221, 0x3f763a35, v85
	v_fmac_f32_e32 v222, 0xbeb8f4ab, v86
	;; [unrolled: 1-line block ×15, first 2 shown]
	v_fma_f32 v70, v93, s14, -v218
	v_mul_f32_e32 v106, 0xbf4c4adb, v205
	v_mov_b32_e32 v214, v117
	v_fmac_f32_e32 v82, 0x3ee437d1, v92
	v_mov_b32_e32 v213, v116
	v_mov_b32_e32 v117, v106
	v_add_f32_e32 v82, v161, v82
	v_fmac_f32_e32 v117, 0xbf1a4643, v93
	v_add_f32_e32 v82, v117, v82
	v_mul_f32_e32 v117, 0x3e3c28d5, v206
	v_mov_b32_e32 v194, v117
	v_mul_f32_e32 v118, 0x3f763a35, v207
	v_fmac_f32_e32 v194, 0xbf7ba420, v94
	v_mov_b32_e32 v119, v118
	v_add_f32_e32 v82, v194, v82
	v_fmac_f32_e32 v119, 0xbe8c1d8e, v95
	v_add_f32_e32 v82, v119, v82
	v_mul_f32_e32 v119, 0x3f2c7751, v208
	v_mov_b32_e32 v175, v121
	v_mov_b32_e32 v194, v119
	;; [unrolled: 1-line block ×3, first 2 shown]
	v_mul_f32_e32 v120, 0xbeb8f4ab, v209
	v_fmac_f32_e32 v194, 0x3f3d2fb0, v96
	v_mov_b32_e32 v121, v120
	v_add_f32_e32 v82, v194, v82
	v_fmac_f32_e32 v121, 0x3f6eb680, v97
	v_add_f32_e32 v82, v121, v82
	v_mul_f32_e32 v121, 0xbf7ee86f, v210
	v_mov_b32_e32 v194, v121
	v_mul_f32_e32 v122, 0xbf06c442, v211
	v_fmac_f32_e32 v194, 0x3dbcf732, v98
	v_mov_b32_e32 v123, v122
	v_add_f32_e32 v82, v194, v82
	v_fmac_f32_e32 v123, 0xbf59a7d5, v99
	v_add_f32_e32 v82, v123, v82
	v_mul_f32_e32 v123, 0x3f3d2fb0, v196
	v_mov_b32_e32 v78, v124
	v_mov_b32_e32 v194, v123
	;; [unrolled: 1-line block ×3, first 2 shown]
	v_mul_f32_e32 v124, 0x3dbcf732, v197
	v_fmac_f32_e32 v194, 0x3f2c7751, v84
	v_mov_b32_e32 v125, v124
	v_mul_f32_e32 v127, 0xbf1a4643, v198
	v_add_f32_e32 v194, v162, v194
	v_fmac_f32_e32 v125, 0x3f7ee86f, v85
	v_mov_b32_e32 v128, v127
	v_add_f32_e32 v125, v125, v194
	v_fmac_f32_e32 v128, 0x3f4c4adb, v86
	v_add_f32_e32 v125, v128, v125
	s_waitcnt vmcnt(1)
	v_fma_f32 v68, v93, s12, -v68
	v_mul_f32_e32 v128, 0xbf7ba420, v199
	v_mov_b32_e32 v194, v128
	v_mul_f32_e32 v129, 0xbf59a7d5, v200
	v_fmac_f32_e32 v194, 0x3e3c28d5, v87
	v_mov_b32_e32 v130, v129
	v_add_f32_e32 v125, v194, v125
	v_fmac_f32_e32 v130, 0xbf06c442, v88
	v_add_f32_e32 v125, v130, v125
	v_mul_f32_e32 v130, 0xbe8c1d8e, v201
	v_mov_b32_e32 v115, v131
	v_mov_b32_e32 v194, v130
	;; [unrolled: 1-line block ×3, first 2 shown]
	v_mul_f32_e32 v131, 0x3ee437d1, v202
	s_waitcnt vmcnt(0)
	v_fma_f32 v64, v94, s14, -v64
	v_add_f32_e32 v2, v64, v2
	buffer_load_dword v64, off, s[20:23], 0 offset:84 ; 4-byte Folded Reload
	v_fmac_f32_e32 v194, 0xbf763a35, v89
	v_mov_b32_e32 v132, v131
	v_add_f32_e32 v125, v194, v125
	v_fmac_f32_e32 v132, 0xbf65296c, v90
	v_add_f32_e32 v125, v132, v125
	v_mul_f32_e32 v132, 0x3f6eb680, v203
	v_mov_b32_e32 v194, v132
	v_fmac_f32_e32 v194, 0xbeb8f4ab, v91
	v_add_f32_e32 v195, v194, v125
	v_mul_f32_e32 v125, 0xbf2c7751, v204
	v_mov_b32_e32 v76, v133
	v_mov_b32_e32 v194, v125
	;; [unrolled: 1-line block ×3, first 2 shown]
	v_mul_f32_e32 v133, 0xbf7ee86f, v205
	v_fmac_f32_e32 v194, 0x3f3d2fb0, v92
	v_mov_b32_e32 v134, v133
	v_mul_f32_e32 v135, 0xbf4c4adb, v206
	v_add_f32_e32 v194, v161, v194
	v_fmac_f32_e32 v134, 0x3dbcf732, v93
	v_mov_b32_e32 v136, v135
	v_add_f32_e32 v134, v134, v194
	v_fmac_f32_e32 v136, 0xbf1a4643, v94
	v_add_f32_e32 v134, v136, v134
	v_mul_f32_e32 v136, 0xbe3c28d5, v207
	v_mov_b32_e32 v152, v138
	v_mov_b32_e32 v194, v136
	v_mov_b32_e32 v151, v137
	v_mul_f32_e32 v137, 0x3f06c442, v208
	v_fmac_f32_e32 v194, 0xbf7ba420, v95
	v_mov_b32_e32 v138, v137
	v_add_f32_e32 v134, v194, v134
	v_fmac_f32_e32 v138, 0xbf59a7d5, v96
	v_add_f32_e32 v134, v138, v134
	v_mul_f32_e32 v138, 0x3f763a35, v209
	v_mov_b32_e32 v194, v138
	v_mul_f32_e32 v139, 0x3f65296c, v210
	v_fmac_f32_e32 v194, 0xbe8c1d8e, v97
	v_mov_b32_e32 v140, v139
	v_add_f32_e32 v134, v194, v134
	v_fmac_f32_e32 v140, 0x3ee437d1, v98
	v_add_f32_e32 v134, v140, v134
	v_mul_f32_e32 v140, 0x3eb8f4ab, v211
	v_mov_b32_e32 v194, v140
	v_fmac_f32_e32 v194, 0x3f6eb680, v99
	v_add_f32_e32 v194, v194, v134
	v_mul_f32_e32 v134, 0x3f6eb680, v196
	v_mov_b32_e32 v196, v134
	buffer_store_dword v167, off, s[20:23], 0 offset:192 ; 4-byte Folded Spill
	v_mul_f32_e32 v167, 0x3f3d2fb0, v197
	v_fmac_f32_e32 v196, 0x3eb8f4ab, v84
	v_mov_b32_e32 v197, v167
	v_add_f32_e32 v196, v162, v196
	v_fmac_f32_e32 v197, 0x3f2c7751, v85
	v_mul_f32_e32 v198, 0x3ee437d1, v198
	v_add_f32_e32 v196, v197, v196
	v_mov_b32_e32 v197, v198
	v_fmac_f32_e32 v197, 0x3f65296c, v86
	v_mul_f32_e32 v199, 0x3dbcf732, v199
	v_add_f32_e32 v196, v197, v196
	v_mov_b32_e32 v197, v199
	v_fmac_f32_e32 v197, 0x3f7ee86f, v87
	v_mul_f32_e32 v200, 0xbe8c1d8e, v200
	v_add_f32_e32 v196, v197, v196
	v_mov_b32_e32 v197, v200
	v_fmac_f32_e32 v197, 0x3f763a35, v88
	v_mul_f32_e32 v201, 0xbf1a4643, v201
	v_add_f32_e32 v196, v197, v196
	v_mov_b32_e32 v197, v201
	v_fmac_f32_e32 v197, 0x3f4c4adb, v89
	v_mul_f32_e32 v202, 0xbf59a7d5, v202
	v_add_f32_e32 v196, v197, v196
	v_mov_b32_e32 v197, v202
	v_fmac_f32_e32 v197, 0x3f06c442, v90
	v_mul_f32_e32 v203, 0xbf7ba420, v203
	v_add_f32_e32 v196, v197, v196
	v_mov_b32_e32 v197, v203
	v_fmac_f32_e32 v197, 0x3e3c28d5, v91
	v_mul_f32_e32 v204, 0xbeb8f4ab, v204
	v_add_f32_e32 v197, v197, v196
	s_waitcnt vmcnt(1)
	v_fma_f32 v64, v95, s3, -v64
	v_add_f32_e32 v2, v64, v2
	buffer_load_dword v64, off, s[20:23], 0 offset:88 ; 4-byte Folded Reload
	v_mov_b32_e32 v196, v204
	v_mul_f32_e32 v72, 0xbf2c7751, v205
	v_fmac_f32_e32 v196, 0x3f6eb680, v92
	v_mov_b32_e32 v205, v72
	v_add_f32_e32 v196, v161, v196
	v_fmac_f32_e32 v205, 0x3f3d2fb0, v93
	v_add_f32_e32 v75, v205, v196
	v_mul_f32_e32 v205, 0xbf65296c, v206
	v_mov_b32_e32 v196, v205
	v_fmac_f32_e32 v196, 0x3ee437d1, v94
	v_mul_f32_e32 v206, 0xbf7ee86f, v207
	v_add_f32_e32 v75, v196, v75
	v_mov_b32_e32 v196, v206
	v_fmac_f32_e32 v196, 0x3dbcf732, v95
	v_mul_f32_e32 v207, 0xbf763a35, v208
	v_fmac_f32_e32 v252, 0xbf7ee86f, v84
	v_add_f32_e32 v75, v196, v75
	v_mov_b32_e32 v196, v207
	v_fmac_f32_e32 v253, 0xbe3c28d5, v85
	v_fmac_f32_e32 v196, 0xbe8c1d8e, v96
	v_mul_f32_e32 v208, 0xbf4c4adb, v209
	v_fmac_f32_e32 v254, 0x3f763a35, v86
	v_add_f32_e32 v75, v196, v75
	v_mov_b32_e32 v196, v208
	v_fmac_f32_e32 v255, 0x3eb8f4ab, v87
	v_fmac_f32_e32 v196, 0xbf1a4643, v97
	v_mul_f32_e32 v209, 0xbf06c442, v210
	v_fmac_f32_e32 v170, 0xbf65296c, v88
	v_add_f32_e32 v75, v196, v75
	v_mov_b32_e32 v196, v209
	v_fmac_f32_e32 v171, 0xbf06c442, v89
	v_fmac_f32_e32 v196, 0xbf59a7d5, v98
	v_mul_f32_e32 v210, 0xbe3c28d5, v211
	v_fmac_f32_e32 v172, 0x3f4c4adb, v90
	v_add_f32_e32 v75, v196, v75
	v_mov_b32_e32 v196, v210
	v_fmac_f32_e32 v173, 0x3f2c7751, v91
	v_fmac_f32_e32 v196, 0xbf7ba420, v99
	v_add_f32_e32 v196, v196, v75
	v_fma_f32 v75, v93, s15, -v183
	v_fma_f32 v74, v97, s14, -v74
	v_add_f32_e32 v73, v161, v73
	v_fmac_f32_e32 v123, 0xbf2c7751, v84
	v_fmac_f32_e32 v124, 0xbf7ee86f, v85
	;; [unrolled: 1-line block ×16, first 2 shown]
	v_fma_f32 v72, v93, s3, -v72
	v_add_f32_e32 v0, v159, v0
	buffer_load_dword v159, off, s[20:23], 0 offset:20 ; 4-byte Folded Reload
	v_mov_b32_e32 v108, v178
	v_mov_b32_e32 v110, v176
	;; [unrolled: 1-line block ×8, first 2 shown]
	s_waitcnt vmcnt(1)
	v_fma_f32 v64, v96, s13, -v64
	v_add_f32_e32 v2, v64, v2
	buffer_load_dword v64, off, s[20:23], 0 offset:92 ; 4-byte Folded Reload
	s_waitcnt vmcnt(0)
	v_fma_f32 v64, v97, s4, -v64
	v_add_f32_e32 v2, v64, v2
	buffer_load_dword v64, off, s[20:23], 0 offset:96 ; 4-byte Folded Reload
	;; [unrolled: 4-line block ×3, first 2 shown]
	s_waitcnt vmcnt(0)
	v_fma_f32 v64, v99, s5, -v64
	v_add_f32_e32 v2, v64, v2
	v_add_f32_e32 v64, v162, v186
	;; [unrolled: 1-line block ×9, first 2 shown]
	buffer_load_dword v64, off, s[20:23], 0 offset:108 ; 4-byte Folded Reload
	s_waitcnt vmcnt(0)
	v_fma_f32 v64, v92, s14, -v64
	v_add_f32_e32 v64, v161, v64
	v_add_f32_e32 v64, v66, v64
	buffer_load_dword v66, off, s[20:23], 0 offset:116 ; 4-byte Folded Reload
	s_waitcnt vmcnt(0)
	v_fma_f32 v66, v94, s5, -v66
	v_add_f32_e32 v64, v66, v64
	buffer_load_dword v66, off, s[20:23], 0 offset:120 ; 4-byte Folded Reload
	s_waitcnt vmcnt(0)
	v_fma_f32 v66, v95, s13, -v66
	;; [unrolled: 4-line block ×6, first 2 shown]
	v_add_f32_e32 v64, v66, v64
	v_add_f32_e32 v66, v162, v220
	;; [unrolled: 1-line block ×9, first 2 shown]
	buffer_load_dword v66, off, s[20:23], 0 offset:140 ; 4-byte Folded Reload
	s_waitcnt vmcnt(0)
	v_fma_f32 v66, v92, s13, -v66
	v_add_f32_e32 v66, v161, v66
	v_add_f32_e32 v66, v68, v66
	buffer_load_dword v68, off, s[20:23], 0 offset:148 ; 4-byte Folded Reload
	s_waitcnt vmcnt(0)
	v_fma_f32 v68, v94, s2, -v68
	v_add_f32_e32 v66, v68, v66
	buffer_load_dword v68, off, s[20:23], 0 offset:152 ; 4-byte Folded Reload
	s_waitcnt vmcnt(0)
	v_fma_f32 v68, v95, s14, -v68
	;; [unrolled: 4-line block ×6, first 2 shown]
	v_add_f32_e32 v66, v68, v66
	v_add_f32_e32 v68, v162, v236
	;; [unrolled: 1-line block ×9, first 2 shown]
	buffer_load_dword v68, off, s[20:23], 0 offset:172 ; 4-byte Folded Reload
	s_waitcnt vmcnt(0)
	v_fma_f32 v68, v92, s12, -v68
	v_add_f32_e32 v68, v161, v68
	v_add_f32_e32 v68, v70, v68
	v_fma_f32 v70, v94, s3, -v216
	v_add_f32_e32 v68, v70, v68
	buffer_load_dword v70, off, s[20:23], 0 offset:176 ; 4-byte Folded Reload
	s_waitcnt vmcnt(0)
	v_fma_f32 v70, v95, s4, -v70
	v_add_f32_e32 v68, v70, v68
	buffer_load_dword v70, off, s[20:23], 0 offset:180 ; 4-byte Folded Reload
	s_waitcnt vmcnt(0)
	;; [unrolled: 4-line block ×3, first 2 shown]
	v_fma_f32 v70, v97, s5, -v70
	v_add_f32_e32 v68, v70, v68
	v_fma_f32 v70, v98, s2, -v212
	v_add_f32_e32 v68, v70, v68
	buffer_load_dword v70, off, s[20:23], 0 offset:188 ; 4-byte Folded Reload
	s_waitcnt vmcnt(0)
	v_fma_f32 v70, v99, s13, -v70
	v_add_f32_e32 v68, v70, v68
	v_add_f32_e32 v70, v162, v252
	;; [unrolled: 1-line block ×9, first 2 shown]
	v_fma_f32 v70, v92, s5, -v185
	v_add_f32_e32 v70, v161, v70
	v_add_f32_e32 v70, v75, v70
	v_fma_f32 v75, v94, s12, -v219
	v_add_f32_e32 v70, v75, v70
	v_fma_f32 v75, v95, s2, -v217
	;; [unrolled: 2-line block ×3, first 2 shown]
	v_add_f32_e32 v70, v75, v70
	v_add_f32_e32 v70, v74, v70
	v_fma_f32 v74, v98, s13, -v215
	v_add_f32_e32 v70, v74, v70
	v_fma_f32 v74, v99, s3, -v107
	buffer_load_dword v107, off, s[20:23], 0 offset:8 ; 4-byte Folded Reload
	v_add_f32_e32 v70, v74, v70
	v_fma_f32 v74, v93, s13, -v106
	v_add_f32_e32 v73, v74, v73
	v_fma_f32 v74, v94, s15, -v117
	;; [unrolled: 2-line block ×7, first 2 shown]
	v_add_f32_e32 v100, v74, v73
	v_add_f32_e32 v73, v162, v123
	;; [unrolled: 1-line block ×9, first 2 shown]
	v_fma_f32 v73, v92, s3, -v125
	v_add_f32_e32 v73, v161, v73
	v_fma_f32 v74, v93, s5, -v133
	v_add_f32_e32 v73, v74, v73
	;; [unrolled: 2-line block ×8, first 2 shown]
	v_add_f32_e32 v73, v162, v134
	v_add_f32_e32 v73, v167, v73
	;; [unrolled: 1-line block ×8, first 2 shown]
	v_fma_f32 v73, v92, s2, -v204
	v_add_f32_e32 v73, v161, v73
	v_add_f32_e32 v72, v72, v73
	v_fma_f32 v73, v94, s4, -v205
	v_add_f32_e32 v72, v73, v72
	v_fma_f32 v73, v95, s5, -v206
	;; [unrolled: 2-line block ×5, first 2 shown]
	v_mov_b32_e32 v137, v151
	v_add_f32_e32 v72, v73, v72
	v_fma_f32 v73, v99, s15, -v210
	v_mov_b32_e32 v138, v152
	buffer_load_dword v152, off, s[20:23], 0 offset:16 ; 4-byte Folded Reload
	buffer_load_dword v151, off, s[20:23], 0 offset:12 ; 4-byte Folded Reload
	v_add_f32_e32 v84, v73, v72
	buffer_load_dword v72, off, s[20:23], 0 offset:104 ; 4-byte Folded Reload
	buffer_load_dword v73, off, s[20:23], 0 offset:192 ; 4-byte Folded Reload
	v_mov_b32_e32 v132, v116
	v_mov_b32_e32 v120, v174
	;; [unrolled: 1-line block ×12, first 2 shown]
	s_waitcnt vmcnt(0)
	v_lshl_add_u32 v72, v73, 3, v72
	ds_write2_b64 v72, v[0:1], v[196:197] offset1:1
	ds_write2_b64 v72, v[194:195], v[82:83] offset0:2 offset1:3
	buffer_load_dword v0, off, s[20:23], 0 offset:56 ; 4-byte Folded Reload
	buffer_load_dword v1, off, s[20:23], 0 offset:60 ; 4-byte Folded Reload
	;; [unrolled: 1-line block ×4, first 2 shown]
	s_waitcnt vmcnt(0)
	ds_write2_b64 v72, v[73:74], v[0:1] offset0:4 offset1:5
	buffer_load_dword v0, off, s[20:23], 0 offset:40 ; 4-byte Folded Reload
	buffer_load_dword v1, off, s[20:23], 0 offset:44 ; 4-byte Folded Reload
	;; [unrolled: 1-line block ×4, first 2 shown]
	s_waitcnt vmcnt(0)
	ds_write2_b64 v72, v[73:74], v[0:1] offset0:6 offset1:7
	buffer_load_dword v0, off, s[20:23], 0 offset:32 ; 4-byte Folded Reload
	buffer_load_dword v1, off, s[20:23], 0 offset:36 ; 4-byte Folded Reload
	s_waitcnt vmcnt(0)
	ds_write2_b64 v72, v[0:1], v[2:3] offset0:8 offset1:9
	ds_write2_b64 v72, v[64:65], v[66:67] offset0:10 offset1:11
	;; [unrolled: 1-line block ×4, first 2 shown]
	ds_write_b64 v72, v[84:85] offset:128
.LBB0_13:
	s_or_b64 exec, exec, s[0:1]
	s_waitcnt lgkmcnt(0)
	s_barrier
	ds_read2_b64 v[64:67], v168 offset1:17
	ds_read2_b64 v[68:71], v168 offset0:102 offset1:119
	ds_read2_b64 v[72:75], v168 offset0:238 offset1:255
	;; [unrolled: 1-line block ×4, first 2 shown]
	v_add_u32_e32 v2, 0x800, v168
	s_waitcnt lgkmcnt(3)
	v_mul_f32_e32 v106, v5, v71
	v_mul_f32_e32 v3, v5, v70
	v_fmac_f32_e32 v106, v4, v70
	v_fma_f32 v70, v4, v71, -v3
	s_waitcnt lgkmcnt(2)
	v_mul_f32_e32 v71, v7, v73
	v_mul_f32_e32 v3, v7, v72
	v_fmac_f32_e32 v71, v6, v72
	v_fma_f32 v72, v6, v73, -v3
	;; [unrolled: 5-line block ×3, first 2 shown]
	v_mul_f32_e32 v77, v7, v75
	v_mul_f32_e32 v3, v7, v74
	v_fmac_f32_e32 v77, v6, v74
	v_fma_f32 v74, v6, v75, -v3
	v_mul_f32_e32 v75, v9, v79
	v_mul_f32_e32 v3, v9, v78
	ds_read2_b64 v[84:87], v2 offset0:16 offset1:33
	ds_read2_b64 v[88:91], v168 offset0:170 offset1:187
	;; [unrolled: 1-line block ×5, first 2 shown]
	ds_read_b64 v[141:142], v168 offset:2720
	v_fmac_f32_e32 v75, v8, v78
	v_fma_f32 v78, v8, v79, -v3
	s_waitcnt lgkmcnt(5)
	v_mul_f32_e32 v79, v11, v85
	v_mul_f32_e32 v3, v11, v84
	v_fmac_f32_e32 v79, v10, v84
	v_fma_f32 v84, v10, v85, -v3
	s_waitcnt lgkmcnt(4)
	v_mul_f32_e32 v85, v13, v89
	v_mul_f32_e32 v3, v13, v88
	v_fmac_f32_e32 v85, v12, v88
	v_fma_f32 v88, v12, v89, -v3
	v_mul_f32_e32 v89, v15, v87
	v_mul_f32_e32 v3, v15, v86
	v_fmac_f32_e32 v89, v14, v86
	v_fma_f32 v86, v14, v87, -v3
	;; [unrolled: 4-line block ×3, first 2 shown]
	s_waitcnt lgkmcnt(2)
	v_mul_f32_e32 v91, v19, v97
	v_mul_f32_e32 v3, v19, v96
	v_fmac_f32_e32 v91, v18, v96
	v_fma_f32 v96, v18, v97, -v3
	s_waitcnt lgkmcnt(1)
	v_mul_f32_e32 v97, v25, v101
	v_mul_f32_e32 v3, v25, v100
	v_fmac_f32_e32 v97, v24, v100
	v_fma_f32 v100, v24, v101, -v3
	v_mul_f32_e32 v3, v27, v98
	v_mul_f32_e32 v101, v27, v99
	v_fma_f32 v27, v26, v99, -v3
	v_mul_f32_e32 v3, v21, v102
	v_add_f32_e32 v4, v106, v71
	v_fmac_f32_e32 v101, v26, v98
	v_fma_f32 v99, v20, v103, -v3
	s_waitcnt lgkmcnt(0)
	v_mul_f32_e32 v3, v23, v141
	v_fma_f32 v5, -0.5, v4, v64
	v_add_f32_e32 v26, v90, v96
	v_mul_f32_e32 v98, v21, v103
	v_fma_f32 v103, v22, v142, -v3
	v_add_f32_e32 v3, v64, v106
	v_sub_f32_e32 v4, v70, v72
	v_mov_b32_e32 v7, v5
	v_add_f32_e32 v6, v70, v72
	v_fma_f32 v26, -0.5, v26, v93
	v_add_f32_e32 v3, v3, v71
	v_fmac_f32_e32 v7, 0xbf5db3d7, v4
	v_fmac_f32_e32 v5, 0x3f5db3d7, v4
	v_add_f32_e32 v4, v65, v70
	v_fma_f32 v6, -0.5, v6, v65
	v_sub_f32_e32 v9, v106, v71
	v_sub_f32_e32 v70, v87, v91
	v_mov_b32_e32 v65, v26
	v_add_f32_e32 v71, v97, v101
	v_fmac_f32_e32 v65, 0x3f5db3d7, v70
	v_fmac_f32_e32 v26, 0xbf5db3d7, v70
	v_add_f32_e32 v70, v94, v97
	v_fma_f32 v94, -0.5, v71, v94
	v_add_f32_e32 v4, v4, v72
	v_sub_f32_e32 v71, v100, v27
	v_mov_b32_e32 v72, v94
	v_fmac_f32_e32 v72, 0xbf5db3d7, v71
	v_fmac_f32_e32 v94, 0x3f5db3d7, v71
	v_add_f32_e32 v71, v95, v100
	v_mov_b32_e32 v8, v6
	v_add_f32_e32 v10, v73, v77
	v_add_f32_e32 v71, v71, v27
	;; [unrolled: 1-line block ×3, first 2 shown]
	v_fmac_f32_e32 v8, 0x3f5db3d7, v9
	v_fmac_f32_e32 v6, 0xbf5db3d7, v9
	v_add_f32_e32 v9, v66, v73
	v_fma_f32 v66, -0.5, v10, v66
	v_fmac_f32_e32 v95, -0.5, v27
	v_fmac_f32_e32 v98, v20, v102
	v_mul_f32_e32 v102, v23, v142
	v_sub_f32_e32 v10, v76, v74
	v_mov_b32_e32 v11, v66
	v_sub_f32_e32 v13, v73, v77
	v_add_f32_e32 v16, v78, v84
	v_sub_f32_e32 v27, v97, v101
	v_mov_b32_e32 v73, v95
	v_fmac_f32_e32 v102, v22, v141
	v_fmac_f32_e32 v11, 0xbf5db3d7, v10
	;; [unrolled: 1-line block ×3, first 2 shown]
	v_add_f32_e32 v10, v67, v76
	v_fma_f32 v16, -0.5, v16, v81
	v_fmac_f32_e32 v73, 0x3f5db3d7, v27
	v_fmac_f32_e32 v95, 0xbf5db3d7, v27
	v_add_f32_e32 v27, v68, v98
	v_add_f32_e32 v10, v10, v74
	;; [unrolled: 1-line block ×3, first 2 shown]
	v_sub_f32_e32 v19, v75, v79
	v_mov_b32_e32 v18, v16
	v_add_f32_e32 v20, v85, v89
	v_add_f32_e32 v74, v27, v102
	;; [unrolled: 1-line block ×3, first 2 shown]
	v_fmac_f32_e32 v18, 0x3f5db3d7, v19
	v_fmac_f32_e32 v16, 0xbf5db3d7, v19
	v_add_f32_e32 v19, v82, v85
	v_fma_f32 v82, -0.5, v20, v82
	v_fma_f32 v68, -0.5, v27, v68
	v_fmac_f32_e32 v67, -0.5, v12
	v_add_f32_e32 v14, v75, v79
	v_sub_f32_e32 v20, v88, v86
	v_mov_b32_e32 v21, v82
	v_add_f32_e32 v22, v88, v86
	v_add_f32_e32 v24, v87, v91
	v_sub_f32_e32 v27, v99, v103
	v_mov_b32_e32 v76, v68
	v_mov_b32_e32 v12, v67
	v_fma_f32 v15, -0.5, v14, v80
	v_fmac_f32_e32 v21, 0xbf5db3d7, v20
	v_fmac_f32_e32 v82, 0x3f5db3d7, v20
	v_add_f32_e32 v20, v83, v88
	v_fmac_f32_e32 v83, -0.5, v22
	v_fma_f32 v25, -0.5, v24, v92
	v_fmac_f32_e32 v76, 0xbf5db3d7, v27
	v_fmac_f32_e32 v68, 0x3f5db3d7, v27
	v_add_f32_e32 v27, v69, v99
	v_fmac_f32_e32 v12, 0x3f5db3d7, v13
	v_fmac_f32_e32 v67, 0xbf5db3d7, v13
	v_add_f32_e32 v13, v80, v75
	v_sub_f32_e32 v14, v78, v84
	v_mov_b32_e32 v17, v15
	v_sub_f32_e32 v23, v85, v89
	v_mov_b32_e32 v22, v83
	;; [unrolled: 2-line block ×3, first 2 shown]
	v_add_f32_e32 v75, v27, v103
	v_add_f32_e32 v27, v99, v103
	v_fmac_f32_e32 v17, 0xbf5db3d7, v14
	v_fmac_f32_e32 v15, 0x3f5db3d7, v14
	v_add_f32_e32 v14, v81, v78
	v_fmac_f32_e32 v22, 0x3f5db3d7, v23
	v_fmac_f32_e32 v83, 0xbf5db3d7, v23
	;; [unrolled: 3-line block ×3, first 2 shown]
	v_add_f32_e32 v24, v93, v90
	v_fmac_f32_e32 v69, -0.5, v27
	v_add_f32_e32 v9, v9, v77
	v_add_f32_e32 v13, v13, v79
	;; [unrolled: 1-line block ×8, first 2 shown]
	v_sub_f32_e32 v27, v98, v102
	v_mov_b32_e32 v77, v69
	s_barrier
	ds_write2_b64 v168, v[3:4], v[7:8] offset1:17
	ds_write2_b64 v168, v[5:6], v[9:10] offset0:34 offset1:51
	ds_write2_b64 v168, v[11:12], v[66:67] offset0:68 offset1:85
	;; [unrolled: 1-line block ×3, first 2 shown]
	ds_write_b64 v151, v[15:16] offset:1088
	ds_write2_b64 v152, v[19:20], v[21:22] offset0:153 offset1:170
	ds_write_b64 v152, v[82:83] offset:1496
	ds_write2_b64 v155, v[23:24], v[64:65] offset0:204 offset1:221
	ds_write_b64 v155, v[25:26] offset:1904
	v_add_u32_e32 v3, 0x400, v156
	v_fmac_f32_e32 v77, 0x3f5db3d7, v27
	v_fmac_f32_e32 v69, 0xbf5db3d7, v27
	ds_write2_b64 v3, v[70:71], v[72:73] offset0:127 offset1:144
	ds_write_b64 v156, v[94:95] offset:2312
	v_add_u32_e32 v3, 0x800, v159
	ds_write2_b64 v3, v[74:75], v[76:77] offset0:50 offset1:67
	ds_write_b64 v159, v[68:69] offset:2720
	s_waitcnt lgkmcnt(0)
	s_barrier
	ds_read2_b64 v[3:6], v168 offset1:17
	ds_read2_b64 v[7:10], v168 offset0:34 offset1:51
	ds_read2_b64 v[11:14], v168 offset0:102 offset1:119
	;; [unrolled: 1-line block ×9, first 2 shown]
	ds_read_b64 v[80:81], v168 offset:2720
	s_waitcnt lgkmcnt(9)
	v_mul_f32_e32 v27, v49, v10
	v_fmac_f32_e32 v27, v48, v9
	v_mul_f32_e32 v9, v49, v9
	v_fma_f32 v9, v48, v10, -v9
	s_waitcnt lgkmcnt(8)
	v_mul_f32_e32 v10, v51, v12
	v_fmac_f32_e32 v10, v50, v11
	v_mul_f32_e32 v11, v51, v11
	v_fma_f32 v11, v50, v12, -v11
	;; [unrolled: 5-line block ×5, first 2 shown]
	s_waitcnt lgkmcnt(4)
	v_mul_f32_e32 v26, v31, v65
	v_mul_f32_e32 v28, v31, v64
	;; [unrolled: 1-line block ×3, first 2 shown]
	v_fmac_f32_e32 v31, v58, v13
	v_mul_f32_e32 v13, v59, v13
	v_fma_f32 v36, v58, v14, -v13
	s_waitcnt lgkmcnt(2)
	v_mul_f32_e32 v13, v45, v72
	v_fma_f32 v38, v44, v73, -v13
	v_mul_f32_e32 v39, v47, v22
	v_mul_f32_e32 v13, v47, v21
	v_fmac_f32_e32 v39, v46, v21
	v_fma_f32 v21, v46, v22, -v13
	s_waitcnt lgkmcnt(1)
	v_mul_f32_e32 v22, v33, v77
	v_mul_f32_e32 v13, v33, v76
	v_fmac_f32_e32 v22, v32, v76
	v_fma_f32 v32, v32, v77, -v13
	v_mul_f32_e32 v33, v35, v67
	v_mul_f32_e32 v13, v35, v66
	;; [unrolled: 1-line block ×3, first 2 shown]
	v_fmac_f32_e32 v33, v34, v66
	v_fma_f32 v34, v34, v67, -v13
	v_mul_f32_e32 v13, v61, v70
	v_fmac_f32_e32 v37, v44, v72
	v_fma_f32 v44, v60, v71, -v13
	v_mul_f32_e32 v13, v63, v15
	v_fma_f32 v46, v62, v16, -v13
	v_mul_f32_e32 v13, v53, v74
	;; [unrolled: 2-line block ×4, first 2 shown]
	v_mul_f32_e32 v13, v41, v78
	v_fmac_f32_e32 v26, v30, v64
	v_fmac_f32_e32 v51, v40, v78
	v_fma_f32 v40, v40, v79, -v13
	s_waitcnt lgkmcnt(0)
	v_mul_f32_e32 v41, v43, v81
	v_mul_f32_e32 v13, v43, v80
	v_fma_f32 v28, v30, v65, -v28
	v_mul_f32_e32 v45, v63, v16
	v_mul_f32_e32 v49, v55, v24
	v_fmac_f32_e32 v41, v42, v80
	v_fma_f32 v42, v42, v81, -v13
	v_add_f32_e32 v13, v27, v26
	v_add_f32_e32 v16, v10, v20
	v_fmac_f32_e32 v49, v54, v23
	v_add_f32_e32 v14, v9, v28
	v_add_f32_e32 v23, v11, v25
	v_sub_f32_e32 v10, v10, v20
	v_add_f32_e32 v20, v12, v18
	v_sub_f32_e32 v12, v18, v12
	v_add_f32_e32 v18, v16, v13
	v_add_f32_e32 v24, v17, v19
	v_sub_f32_e32 v17, v19, v17
	v_add_f32_e32 v19, v23, v14
	v_add_f32_e32 v18, v20, v18
	;; [unrolled: 1-line block ×4, first 2 shown]
	v_mad_u64_u32 v[0:1], s[0:1], s10, v126, 0
	v_fmac_f32_e32 v45, v62, v15
	v_mul_f32_e32 v47, v53, v75
	v_sub_f32_e32 v15, v27, v26
	v_sub_f32_e32 v9, v9, v28
	;; [unrolled: 1-line block ×9, first 2 shown]
	v_add_f32_e32 v27, v12, v10
	v_sub_f32_e32 v43, v12, v10
	v_add_f32_e32 v4, v4, v19
	v_mov_b32_e32 v53, v3
	v_fmac_f32_e32 v47, v52, v74
	v_add_f32_e32 v28, v17, v11
	v_sub_f32_e32 v52, v17, v11
	v_sub_f32_e32 v12, v15, v12
	;; [unrolled: 1-line block ×4, first 2 shown]
	v_add_f32_e32 v15, v27, v15
	v_mul_f32_e32 v13, 0x3f4a47b2, v13
	v_mul_f32_e32 v14, 0x3f4a47b2, v14
	;; [unrolled: 1-line block ×5, first 2 shown]
	s_mov_b32 s0, 0xbf5ff5aa
	v_fmac_f32_e32 v53, 0xbf955555, v18
	v_mov_b32_e32 v18, v4
	s_mov_b32 s1, 0x3f3bfb3b
	s_mov_b32 s2, 0xbf3bfb3b
	v_mul_f32_e32 v29, v57, v69
	v_sub_f32_e32 v17, v9, v17
	v_add_f32_e32 v9, v28, v9
	v_mul_f32_e32 v28, 0x3f08b237, v52
	v_mul_f32_e32 v43, 0xbf5ff5aa, v10
	;; [unrolled: 1-line block ×3, first 2 shown]
	v_fmac_f32_e32 v18, 0xbf955555, v19
	v_fma_f32 v19, v25, s1, -v20
	v_fma_f32 v20, v26, s1, -v24
	;; [unrolled: 1-line block ×3, first 2 shown]
	v_fmac_f32_e32 v13, 0x3d64c772, v16
	v_fma_f32 v16, v26, s2, -v14
	v_fmac_f32_e32 v14, 0x3d64c772, v23
	v_fma_f32 v23, v10, s0, -v27
	v_fmac_f32_e32 v27, 0xbeae86e6, v12
	s_mov_b32 s3, 0x3eae86e6
	v_fmac_f32_e32 v29, v56, v68
	v_mul_f32_e32 v30, v57, v68
	v_fma_f32 v25, v11, s0, -v28
	v_fmac_f32_e32 v28, 0xbeae86e6, v17
	v_fma_f32 v26, v12, s3, -v43
	v_fma_f32 v17, v17, s3, -v52
	v_add_f32_e32 v52, v14, v18
	v_add_f32_e32 v20, v20, v18
	v_fmac_f32_e32 v27, 0xbee1c552, v15
	v_fmac_f32_e32 v23, 0xbee1c552, v15
	v_fma_f32 v30, v56, v69, -v30
	v_add_f32_e32 v43, v13, v53
	v_add_f32_e32 v19, v19, v53
	;; [unrolled: 1-line block ×4, first 2 shown]
	v_fmac_f32_e32 v28, 0xbee1c552, v9
	v_fmac_f32_e32 v25, 0xbee1c552, v9
	;; [unrolled: 1-line block ×4, first 2 shown]
	v_sub_f32_e32 v10, v52, v27
	v_add_f32_e32 v14, v23, v20
	v_sub_f32_e32 v16, v20, v23
	v_add_f32_e32 v20, v27, v52
	v_add_f32_e32 v23, v29, v33
	;; [unrolled: 1-line block ×5, first 2 shown]
	v_sub_f32_e32 v12, v18, v26
	v_sub_f32_e32 v13, v19, v25
	v_add_f32_e32 v15, v25, v19
	v_sub_f32_e32 v17, v24, v17
	v_add_f32_e32 v18, v26, v18
	;; [unrolled: 2-line block ×3, first 2 shown]
	v_sub_f32_e32 v25, v29, v33
	v_sub_f32_e32 v26, v30, v34
	v_add_f32_e32 v28, v36, v32
	v_add_f32_e32 v30, v37, v39
	;; [unrolled: 1-line block ×3, first 2 shown]
	v_sub_f32_e32 v22, v31, v22
	v_sub_f32_e32 v29, v36, v32
	v_add_f32_e32 v31, v38, v21
	v_add_f32_e32 v34, v28, v24
	v_sub_f32_e32 v36, v27, v23
	v_sub_f32_e32 v23, v23, v30
	;; [unrolled: 1-line block ×3, first 2 shown]
	v_add_f32_e32 v30, v30, v33
	v_sub_f32_e32 v32, v39, v37
	v_sub_f32_e32 v21, v21, v38
	;; [unrolled: 1-line block ×5, first 2 shown]
	v_add_f32_e32 v31, v31, v34
	v_add_f32_e32 v5, v5, v30
	;; [unrolled: 1-line block ×4, first 2 shown]
	v_sub_f32_e32 v43, v32, v22
	v_sub_f32_e32 v52, v21, v29
	v_add_f32_e32 v6, v6, v31
	v_mov_b32_e32 v53, v5
	v_sub_f32_e32 v32, v25, v32
	v_sub_f32_e32 v21, v26, v21
	;; [unrolled: 1-line block ×4, first 2 shown]
	v_add_f32_e32 v25, v38, v25
	v_add_f32_e32 v26, v39, v26
	v_mul_f32_e32 v23, 0x3f4a47b2, v23
	v_mul_f32_e32 v24, 0x3f4a47b2, v24
	;; [unrolled: 1-line block ×6, first 2 shown]
	v_fmac_f32_e32 v53, 0xbf955555, v30
	v_mov_b32_e32 v30, v6
	v_mul_f32_e32 v35, v61, v71
	v_mul_f32_e32 v43, 0xbf5ff5aa, v22
	;; [unrolled: 1-line block ×3, first 2 shown]
	v_fmac_f32_e32 v30, 0xbf955555, v31
	v_fma_f32 v31, v36, s1, -v33
	v_fma_f32 v33, v37, s1, -v34
	;; [unrolled: 1-line block ×3, first 2 shown]
	v_fmac_f32_e32 v23, 0x3d64c772, v27
	v_fma_f32 v27, v37, s2, -v24
	v_fmac_f32_e32 v24, 0x3d64c772, v28
	v_fma_f32 v28, v22, s0, -v38
	v_fma_f32 v29, v29, s0, -v39
	v_fmac_f32_e32 v39, 0xbeae86e6, v21
	v_fmac_f32_e32 v35, v60, v70
	;; [unrolled: 1-line block ×3, first 2 shown]
	v_fma_f32 v32, v32, s3, -v43
	v_fma_f32 v36, v21, s3, -v52
	v_add_f32_e32 v37, v23, v53
	v_add_f32_e32 v31, v31, v53
	;; [unrolled: 1-line block ×3, first 2 shown]
	v_fmac_f32_e32 v39, 0xbee1c552, v26
	v_fmac_f32_e32 v28, 0xbee1c552, v25
	;; [unrolled: 1-line block ×3, first 2 shown]
	v_add_f32_e32 v43, v24, v30
	v_add_f32_e32 v34, v34, v53
	;; [unrolled: 1-line block ×3, first 2 shown]
	v_fmac_f32_e32 v38, 0xbee1c552, v25
	v_fmac_f32_e32 v32, 0xbee1c552, v25
	;; [unrolled: 1-line block ×3, first 2 shown]
	v_add_f32_e32 v21, v39, v37
	v_sub_f32_e32 v25, v31, v29
	v_add_f32_e32 v26, v28, v33
	v_add_f32_e32 v27, v29, v31
	v_sub_f32_e32 v28, v33, v28
	v_sub_f32_e32 v31, v37, v39
	v_add_f32_e32 v33, v35, v41
	v_add_f32_e32 v37, v45, v51
	v_sub_f32_e32 v22, v43, v38
	v_add_f32_e32 v23, v36, v34
	v_sub_f32_e32 v24, v30, v32
	v_sub_f32_e32 v29, v34, v36
	v_add_f32_e32 v30, v32, v30
	v_add_f32_e32 v32, v38, v43
	;; [unrolled: 1-line block ×3, first 2 shown]
	v_sub_f32_e32 v35, v35, v41
	v_add_f32_e32 v38, v46, v40
	v_sub_f32_e32 v39, v45, v51
	v_add_f32_e32 v41, v47, v49
	v_add_f32_e32 v45, v37, v33
	v_sub_f32_e32 v36, v44, v42
	v_sub_f32_e32 v40, v46, v40
	v_add_f32_e32 v42, v48, v50
	v_sub_f32_e32 v43, v49, v47
	v_add_f32_e32 v46, v38, v34
	v_sub_f32_e32 v47, v37, v33
	v_sub_f32_e32 v33, v33, v41
	;; [unrolled: 1-line block ×3, first 2 shown]
	v_add_f32_e32 v41, v41, v45
	v_sub_f32_e32 v44, v50, v48
	v_sub_f32_e32 v48, v38, v34
	;; [unrolled: 1-line block ×4, first 2 shown]
	v_add_f32_e32 v42, v42, v46
	v_add_f32_e32 v7, v7, v41
	;; [unrolled: 1-line block ×4, first 2 shown]
	v_sub_f32_e32 v51, v43, v39
	v_sub_f32_e32 v52, v44, v40
	;; [unrolled: 1-line block ×4, first 2 shown]
	v_add_f32_e32 v8, v8, v42
	v_mov_b32_e32 v53, v7
	v_sub_f32_e32 v43, v35, v43
	v_sub_f32_e32 v44, v36, v44
	v_add_f32_e32 v35, v49, v35
	v_add_f32_e32 v36, v50, v36
	v_mul_f32_e32 v33, 0x3f4a47b2, v33
	v_mul_f32_e32 v34, 0x3f4a47b2, v34
	v_mul_f32_e32 v45, 0x3d64c772, v37
	v_mul_f32_e32 v46, 0x3d64c772, v38
	v_mul_f32_e32 v49, 0x3f08b237, v51
	v_mul_f32_e32 v50, 0x3f08b237, v52
	v_mul_f32_e32 v51, 0xbf5ff5aa, v39
	v_mul_f32_e32 v52, 0xbf5ff5aa, v40
	v_fmac_f32_e32 v53, 0xbf955555, v41
	v_mov_b32_e32 v41, v8
	v_fmac_f32_e32 v41, 0xbf955555, v42
	v_fma_f32 v42, v47, s1, -v45
	v_fma_f32 v45, v48, s1, -v46
	;; [unrolled: 1-line block ×3, first 2 shown]
	v_fmac_f32_e32 v33, 0x3d64c772, v37
	v_fma_f32 v37, v48, s2, -v34
	v_fmac_f32_e32 v34, 0x3d64c772, v38
	v_fma_f32 v47, v39, s0, -v49
	;; [unrolled: 2-line block ×4, first 2 shown]
	v_fma_f32 v44, v44, s3, -v52
	v_add_f32_e32 v48, v33, v53
	v_add_f32_e32 v51, v34, v41
	;; [unrolled: 1-line block ×6, first 2 shown]
	v_fmac_f32_e32 v49, 0xbee1c552, v35
	v_fmac_f32_e32 v50, 0xbee1c552, v36
	;; [unrolled: 1-line block ×6, first 2 shown]
	ds_write2_b64 v168, v[11:12], v[13:14] offset0:102 offset1:153
	ds_write2_b64 v168, v[15:16], v[17:18] offset0:204 offset1:255
	ds_write_b64 v168, v[19:20] offset:2448
	ds_write2_b64 v168, v[3:4], v[5:6] offset1:17
	ds_write2_b64 v169, v[21:22], v[23:24] offset0:51 offset1:102
	ds_write2_b64 v169, v[25:26], v[27:28] offset0:153 offset1:204
	v_add_u32_e32 v3, 0x400, v169
	v_add_f32_e32 v33, v50, v48
	v_sub_f32_e32 v34, v51, v49
	v_add_f32_e32 v35, v44, v45
	v_sub_f32_e32 v36, v46, v43
	v_sub_f32_e32 v37, v40, v39
	v_add_f32_e32 v38, v47, v42
	v_add_f32_e32 v39, v39, v40
	v_sub_f32_e32 v40, v42, v47
	v_sub_f32_e32 v41, v45, v44
	v_add_f32_e32 v42, v43, v46
	v_sub_f32_e32 v43, v48, v50
	v_add_f32_e32 v44, v49, v51
	ds_write2_b64 v3, v[29:30], v[31:32] offset0:127 offset1:178
	ds_write2_b64 v168, v[7:8], v[9:10] offset0:34 offset1:51
	;; [unrolled: 1-line block ×4, first 2 shown]
	v_add_u32_e32 v3, 0x400, v160
	ds_write2_b64 v3, v[41:42], v[43:44] offset0:127 offset1:178
	s_waitcnt lgkmcnt(0)
	s_barrier
	ds_read2_b64 v[3:6], v168 offset1:21
	s_mov_b32 s2, 0x16f26017
	s_mov_b32 s3, 0x3f66f260
	v_mad_u64_u32 v[9:10], s[0:1], s8, v107, 0
	s_waitcnt lgkmcnt(0)
	v_mul_f32_e32 v7, v138, v4
	v_fmac_f32_e32 v7, v137, v3
	v_mul_f32_e32 v3, v138, v3
	v_fma_f32 v3, v137, v4, -v3
	v_cvt_f64_f32_e32 v[7:8], v7
	v_cvt_f64_f32_e32 v[3:4], v3
	v_mad_u64_u32 v[11:12], s[0:1], s11, v126, v[1:2]
	v_mul_f64 v[7:8], v[7:8], s[2:3]
	v_mul_f64 v[3:4], v[3:4], s[2:3]
	v_mov_b32_e32 v1, v10
	v_mad_u64_u32 v[12:13], s[0:1], s9, v107, v[1:2]
	v_mov_b32_e32 v1, v11
	v_lshlrev_b64 v[0:1], 3, v[0:1]
	v_mov_b32_e32 v10, v12
	v_cvt_f32_f64_e32 v7, v[7:8]
	v_cvt_f32_f64_e32 v8, v[3:4]
	v_mul_f32_e32 v3, v229, v6
	v_fmac_f32_e32 v3, v228, v5
	v_cvt_f64_f32_e32 v[11:12], v3
	v_mul_f32_e32 v3, v229, v5
	v_fma_f32 v3, v228, v6, -v3
	v_cvt_f64_f32_e32 v[5:6], v3
	v_mov_b32_e32 v4, s7
	v_add_co_u32_e64 v3, s[0:1], s6, v0
	v_lshlrev_b64 v[9:10], 3, v[9:10]
	v_addc_co_u32_e64 v4, s[0:1], v4, v1, s[0:1]
	v_mul_f64 v[0:1], v[11:12], s[2:3]
	v_mul_f64 v[11:12], v[5:6], s[2:3]
	v_add_co_u32_e64 v9, s[0:1], v3, v9
	v_addc_co_u32_e64 v10, s[0:1], v4, v10, s[0:1]
	global_store_dwordx2 v[9:10], v[7:8], off
	ds_read2_b64 v[5:8], v168 offset0:42 offset1:63
	v_cvt_f32_f64_e32 v0, v[0:1]
	v_cvt_f32_f64_e32 v1, v[11:12]
	s_mul_i32 s0, s9, 21
	s_mul_hi_u32 s1, s8, 21
	s_waitcnt lgkmcnt(0)
	v_mul_f32_e32 v11, v117, v6
	v_fmac_f32_e32 v11, v116, v5
	v_mul_f32_e32 v5, v117, v5
	v_fma_f32 v5, v116, v6, -v5
	v_cvt_f64_f32_e32 v[5:6], v5
	v_cvt_f64_f32_e32 v[11:12], v11
	s_add_i32 s1, s1, s0
	s_mul_i32 s0, s8, 21
	v_mul_f64 v[5:6], v[5:6], s[2:3]
	v_mul_f64 v[11:12], v[11:12], s[2:3]
	s_lshl_b64 s[4:5], s[0:1], 3
	v_mov_b32_e32 v17, s5
	v_add_co_u32_e64 v9, s[0:1], s4, v9
	v_addc_co_u32_e64 v10, s[0:1], v10, v17, s[0:1]
	global_store_dwordx2 v[9:10], v[0:1], off
	v_cvt_f32_f64_e32 v1, v[5:6]
	v_mul_f32_e32 v5, v132, v8
	v_fmac_f32_e32 v5, v131, v7
	v_cvt_f32_f64_e32 v0, v[11:12]
	v_cvt_f64_f32_e32 v[11:12], v5
	v_mul_f32_e32 v5, v132, v7
	v_fma_f32 v5, v131, v8, -v5
	v_cvt_f64_f32_e32 v[13:14], v5
	ds_read2_b64 v[5:8], v168 offset0:84 offset1:105
	v_mul_f64 v[11:12], v[11:12], s[2:3]
	v_add_co_u32_e64 v9, s[0:1], s4, v9
	v_mul_f64 v[13:14], v[13:14], s[2:3]
	s_waitcnt lgkmcnt(0)
	v_mul_f32_e32 v15, v134, v6
	v_fmac_f32_e32 v15, v133, v5
	v_mul_f32_e32 v5, v134, v5
	v_fma_f32 v5, v133, v6, -v5
	v_cvt_f64_f32_e32 v[5:6], v5
	v_cvt_f64_f32_e32 v[15:16], v15
	v_addc_co_u32_e64 v10, s[0:1], v10, v17, s[0:1]
	v_mul_f64 v[5:6], v[5:6], s[2:3]
	global_store_dwordx2 v[9:10], v[0:1], off
	v_cvt_f32_f64_e32 v0, v[11:12]
	v_mul_f64 v[11:12], v[15:16], s[2:3]
	v_cvt_f32_f64_e32 v1, v[13:14]
	v_add_co_u32_e64 v9, s[0:1], s4, v9
	v_addc_co_u32_e64 v10, s[0:1], v10, v17, s[0:1]
	global_store_dwordx2 v[9:10], v[0:1], off
	v_cvt_f32_f64_e32 v1, v[5:6]
	v_mul_f32_e32 v5, v115, v8
	v_fmac_f32_e32 v5, v114, v7
	v_cvt_f32_f64_e32 v0, v[11:12]
	v_cvt_f64_f32_e32 v[11:12], v5
	v_mul_f32_e32 v5, v115, v7
	v_fma_f32 v5, v114, v8, -v5
	v_cvt_f64_f32_e32 v[13:14], v5
	ds_read2_b64 v[5:8], v168 offset0:126 offset1:147
	v_mul_f64 v[11:12], v[11:12], s[2:3]
	v_add_co_u32_e64 v9, s[0:1], s4, v9
	v_mul_f64 v[13:14], v[13:14], s[2:3]
	s_waitcnt lgkmcnt(0)
	v_mul_f32_e32 v15, v251, v6
	v_fmac_f32_e32 v15, v250, v5
	v_mul_f32_e32 v5, v251, v5
	v_fma_f32 v5, v250, v6, -v5
	v_cvt_f64_f32_e32 v[5:6], v5
	v_cvt_f64_f32_e32 v[15:16], v15
	v_addc_co_u32_e64 v10, s[0:1], v10, v17, s[0:1]
	v_mul_f64 v[5:6], v[5:6], s[2:3]
	global_store_dwordx2 v[9:10], v[0:1], off
	v_cvt_f32_f64_e32 v0, v[11:12]
	v_mul_f64 v[11:12], v[15:16], s[2:3]
	v_cvt_f32_f64_e32 v1, v[13:14]
	;; [unrolled: 28-line block ×4, first 2 shown]
	v_add_co_u32_e64 v9, s[0:1], s4, v9
	v_addc_co_u32_e64 v10, s[0:1], v10, v17, s[0:1]
	global_store_dwordx2 v[9:10], v[0:1], off
	v_cvt_f32_f64_e32 v1, v[5:6]
	v_mul_f32_e32 v5, v233, v8
	v_fmac_f32_e32 v5, v232, v7
	v_cvt_f32_f64_e32 v0, v[11:12]
	v_cvt_f64_f32_e32 v[11:12], v5
	v_mul_f32_e32 v5, v233, v7
	v_fma_f32 v5, v232, v8, -v5
	v_cvt_f64_f32_e32 v[13:14], v5
	v_mul_f64 v[11:12], v[11:12], s[2:3]
	v_add_co_u32_e64 v9, s[0:1], s4, v9
	v_mul_f64 v[13:14], v[13:14], s[2:3]
	v_addc_co_u32_e64 v10, s[0:1], v10, v17, s[0:1]
	global_store_dwordx2 v[9:10], v[0:1], off
	v_add_co_u32_e64 v9, s[0:1], s4, v9
	v_cvt_f32_f64_e32 v0, v[11:12]
	v_addc_co_u32_e64 v10, s[0:1], v10, v17, s[0:1]
	v_cvt_f32_f64_e32 v1, v[13:14]
	v_add_u32_e32 v5, 0x400, v168
	ds_read2_b64 v[5:8], v5 offset0:124 offset1:145
	global_store_dwordx2 v[9:10], v[0:1], off
	buffer_load_dword v13, off, s[20:23], 0 ; 4-byte Folded Reload
	buffer_load_dword v14, off, s[20:23], 0 offset:4 ; 4-byte Folded Reload
	v_add_co_u32_e64 v9, s[0:1], s4, v9
	s_waitcnt lgkmcnt(0)
	v_mul_f32_e32 v15, v235, v6
	v_fmac_f32_e32 v15, v234, v5
	v_mul_f32_e32 v5, v235, v5
	v_fma_f32 v5, v234, v6, -v5
	v_cvt_f64_f32_e32 v[5:6], v5
	v_cvt_f64_f32_e32 v[15:16], v15
	v_addc_co_u32_e64 v10, s[0:1], v10, v17, s[0:1]
	v_mul_f64 v[5:6], v[5:6], s[2:3]
	v_mul_f64 v[11:12], v[15:16], s[2:3]
	v_cvt_f32_f64_e32 v1, v[5:6]
	v_cvt_f32_f64_e32 v0, v[11:12]
	global_store_dwordx2 v[9:10], v[0:1], off
	v_add_co_u32_e64 v9, s[0:1], s4, v9
	v_addc_co_u32_e64 v10, s[0:1], v10, v17, s[0:1]
	s_waitcnt vmcnt(1)
	v_mul_f32_e32 v5, v14, v8
	v_fmac_f32_e32 v5, v13, v7
	v_cvt_f64_f32_e32 v[11:12], v5
	v_mul_f32_e32 v5, v14, v7
	v_fma_f32 v5, v13, v8, -v5
	v_cvt_f64_f32_e32 v[13:14], v5
	ds_read2_b64 v[5:8], v2 offset0:38 offset1:59
	v_mul_f64 v[11:12], v[11:12], s[2:3]
	v_mul_f64 v[13:14], v[13:14], s[2:3]
	s_waitcnt lgkmcnt(0)
	v_mul_f32_e32 v15, v113, v6
	v_fmac_f32_e32 v15, v112, v5
	v_mul_f32_e32 v5, v113, v5
	v_fma_f32 v5, v112, v6, -v5
	v_cvt_f64_f32_e32 v[5:6], v5
	v_cvt_f64_f32_e32 v[15:16], v15
	v_cvt_f32_f64_e32 v0, v[11:12]
	v_cvt_f32_f64_e32 v1, v[13:14]
	v_mul_f64 v[5:6], v[5:6], s[2:3]
	v_mul_f64 v[11:12], v[15:16], s[2:3]
	global_store_dwordx2 v[9:10], v[0:1], off
	v_add_co_u32_e64 v9, s[0:1], s4, v9
	v_addc_co_u32_e64 v10, s[0:1], v10, v17, s[0:1]
	v_cvt_f32_f64_e32 v1, v[5:6]
	v_mul_f32_e32 v5, v111, v8
	v_fmac_f32_e32 v5, v110, v7
	v_cvt_f32_f64_e32 v0, v[11:12]
	v_cvt_f64_f32_e32 v[5:6], v5
	ds_read_b64 v[11:12], v168 offset:2688
	v_mul_f32_e32 v7, v111, v7
	v_fma_f32 v7, v110, v8, -v7
	v_mul_f64 v[5:6], v[5:6], s[2:3]
	v_cvt_f64_f32_e32 v[7:8], v7
	s_waitcnt lgkmcnt(0)
	v_mul_f32_e32 v13, v109, v12
	v_fmac_f32_e32 v13, v108, v11
	v_mul_f32_e32 v11, v109, v11
	v_fma_f32 v11, v108, v12, -v11
	v_cvt_f64_f32_e32 v[13:14], v13
	v_cvt_f64_f32_e32 v[11:12], v11
	v_mul_f64 v[7:8], v[7:8], s[2:3]
	global_store_dwordx2 v[9:10], v[0:1], off
	v_cvt_f32_f64_e32 v0, v[5:6]
	v_mul_f64 v[5:6], v[13:14], s[2:3]
	v_mul_f64 v[11:12], v[11:12], s[2:3]
	v_cvt_f32_f64_e32 v1, v[7:8]
	v_add_co_u32_e64 v7, s[0:1], s4, v9
	v_cvt_f32_f64_e32 v5, v[5:6]
	v_cvt_f32_f64_e32 v6, v[11:12]
	v_addc_co_u32_e64 v8, s[0:1], v10, v17, s[0:1]
	global_store_dwordx2 v[7:8], v[0:1], off
	v_add_co_u32_e64 v0, s[0:1], s4, v7
	v_addc_co_u32_e64 v1, s[0:1], v8, v17, s[0:1]
	global_store_dwordx2 v[0:1], v[5:6], off
	s_and_b64 exec, exec, vcc
	s_cbranch_execz .LBB0_15
; %bb.14:
	global_load_dwordx2 v[9:10], v[104:105], off offset:136
	ds_read2_b64 v[5:8], v168 offset0:17 offset1:38
	v_mov_b32_e32 v12, s5
	s_mul_hi_u32 s5, s8, 0x150
	s_waitcnt vmcnt(0) lgkmcnt(0)
	v_mul_f32_e32 v11, v6, v10
	v_mul_f32_e32 v10, v5, v10
	v_fmac_f32_e32 v11, v5, v9
	v_fma_f32 v9, v9, v6, -v10
	v_cvt_f64_f32_e32 v[5:6], v11
	v_cvt_f64_f32_e32 v[9:10], v9
	v_mov_b32_e32 v11, 0xfffff608
	v_mad_u64_u32 v[0:1], s[0:1], s8, v11, v[0:1]
	v_mul_f64 v[5:6], v[5:6], s[2:3]
	v_mul_f64 v[9:10], v[9:10], s[2:3]
	s_mul_i32 s0, s9, 0xfffff608
	s_sub_i32 s0, s0, s8
	v_add_u32_e32 v1, s0, v1
	v_cvt_f32_f64_e32 v5, v[5:6]
	v_cvt_f32_f64_e32 v6, v[9:10]
	global_store_dwordx2 v[0:1], v[5:6], off
	global_load_dwordx2 v[5:6], v[104:105], off offset:304
	v_add_co_u32_e32 v0, vcc, s4, v0
	v_addc_co_u32_e32 v1, vcc, v1, v12, vcc
	s_waitcnt vmcnt(0)
	v_mul_f32_e32 v9, v8, v6
	v_mul_f32_e32 v6, v7, v6
	v_fmac_f32_e32 v9, v7, v5
	v_fma_f32 v7, v5, v8, -v6
	v_cvt_f64_f32_e32 v[5:6], v9
	v_cvt_f64_f32_e32 v[7:8], v7
	v_mul_f64 v[5:6], v[5:6], s[2:3]
	v_mul_f64 v[7:8], v[7:8], s[2:3]
	v_cvt_f32_f64_e32 v5, v[5:6]
	v_cvt_f32_f64_e32 v6, v[7:8]
	global_store_dwordx2 v[0:1], v[5:6], off
	global_load_dwordx2 v[9:10], v[104:105], off offset:472
	ds_read2_b64 v[5:8], v168 offset0:59 offset1:80
	v_add_co_u32_e32 v0, vcc, s4, v0
	v_addc_co_u32_e32 v1, vcc, v1, v12, vcc
	s_waitcnt vmcnt(0) lgkmcnt(0)
	v_mul_f32_e32 v11, v6, v10
	v_mul_f32_e32 v10, v5, v10
	v_fmac_f32_e32 v11, v5, v9
	v_fma_f32 v9, v9, v6, -v10
	v_cvt_f64_f32_e32 v[5:6], v11
	v_cvt_f64_f32_e32 v[9:10], v9
	v_or_b32_e32 v11, 0x50, v107
	v_mul_f64 v[5:6], v[5:6], s[2:3]
	v_mul_f64 v[9:10], v[9:10], s[2:3]
	v_cvt_f32_f64_e32 v5, v[5:6]
	v_cvt_f32_f64_e32 v6, v[9:10]
	v_mad_u64_u32 v[9:10], s[0:1], s8, v11, 0
	global_store_dwordx2 v[0:1], v[5:6], off
	global_load_dwordx2 v[5:6], v[104:105], off offset:640
	v_mad_u64_u32 v[10:11], s[0:1], s9, v11, v[10:11]
	s_mul_i32 s1, s9, 0x150
	s_mul_i32 s0, s8, 0x150
	v_lshlrev_b64 v[9:10], 3, v[9:10]
	s_add_i32 s1, s5, s1
	s_waitcnt vmcnt(0)
	v_mul_f32_e32 v13, v8, v6
	v_mul_f32_e32 v6, v7, v6
	v_fmac_f32_e32 v13, v7, v5
	v_fma_f32 v7, v5, v8, -v6
	v_cvt_f64_f32_e32 v[5:6], v13
	v_cvt_f64_f32_e32 v[7:8], v7
	v_mul_f64 v[5:6], v[5:6], s[2:3]
	v_mul_f64 v[7:8], v[7:8], s[2:3]
	v_cvt_f32_f64_e32 v5, v[5:6]
	v_cvt_f32_f64_e32 v6, v[7:8]
	v_add_co_u32_e32 v7, vcc, v3, v9
	v_addc_co_u32_e32 v8, vcc, v4, v10, vcc
	global_store_dwordx2 v[7:8], v[5:6], off
	global_load_dwordx2 v[9:10], v[104:105], off offset:808
	ds_read2_b64 v[5:8], v168 offset0:101 offset1:122
	v_add_co_u32_e32 v0, vcc, s0, v0
	s_waitcnt vmcnt(0) lgkmcnt(0)
	v_mul_f32_e32 v11, v6, v10
	v_mul_f32_e32 v10, v5, v10
	v_fmac_f32_e32 v11, v5, v9
	v_fma_f32 v9, v9, v6, -v10
	v_cvt_f64_f32_e32 v[5:6], v11
	v_cvt_f64_f32_e32 v[9:10], v9
	v_mov_b32_e32 v11, s1
	v_addc_co_u32_e32 v1, vcc, v1, v11, vcc
	v_mul_f64 v[5:6], v[5:6], s[2:3]
	v_mul_f64 v[9:10], v[9:10], s[2:3]
	v_cvt_f32_f64_e32 v5, v[5:6]
	v_cvt_f32_f64_e32 v6, v[9:10]
	global_store_dwordx2 v[0:1], v[5:6], off
	global_load_dwordx2 v[5:6], v[104:105], off offset:976
	v_add_co_u32_e32 v0, vcc, s4, v0
	v_addc_co_u32_e32 v1, vcc, v1, v12, vcc
	s_waitcnt vmcnt(0)
	v_mul_f32_e32 v9, v8, v6
	v_mul_f32_e32 v6, v7, v6
	v_fmac_f32_e32 v9, v7, v5
	v_fma_f32 v7, v5, v8, -v6
	v_cvt_f64_f32_e32 v[5:6], v9
	v_cvt_f64_f32_e32 v[7:8], v7
	v_mul_f64 v[5:6], v[5:6], s[2:3]
	v_mul_f64 v[7:8], v[7:8], s[2:3]
	v_cvt_f32_f64_e32 v5, v[5:6]
	v_cvt_f32_f64_e32 v6, v[7:8]
	global_store_dwordx2 v[0:1], v[5:6], off
	global_load_dwordx2 v[9:10], v[104:105], off offset:1144
	ds_read2_b64 v[5:8], v168 offset0:143 offset1:164
	v_add_co_u32_e32 v0, vcc, s4, v0
	v_addc_co_u32_e32 v1, vcc, v1, v12, vcc
	s_waitcnt vmcnt(0) lgkmcnt(0)
	v_mul_f32_e32 v11, v6, v10
	v_mul_f32_e32 v10, v5, v10
	v_fmac_f32_e32 v11, v5, v9
	v_fma_f32 v9, v9, v6, -v10
	v_cvt_f64_f32_e32 v[5:6], v11
	v_cvt_f64_f32_e32 v[9:10], v9
	v_or_b32_e32 v11, 0xa4, v107
	v_mul_f64 v[5:6], v[5:6], s[2:3]
	v_mul_f64 v[9:10], v[9:10], s[2:3]
	v_cvt_f32_f64_e32 v5, v[5:6]
	v_cvt_f32_f64_e32 v6, v[9:10]
	v_mad_u64_u32 v[9:10], s[6:7], s8, v11, 0
	global_store_dwordx2 v[0:1], v[5:6], off
	global_load_dwordx2 v[5:6], v[104:105], off offset:1312
	v_mad_u64_u32 v[10:11], s[6:7], s9, v11, v[10:11]
	v_lshlrev_b64 v[9:10], 3, v[9:10]
	s_waitcnt vmcnt(0)
	v_mul_f32_e32 v13, v8, v6
	v_mul_f32_e32 v6, v7, v6
	v_fmac_f32_e32 v13, v7, v5
	v_fma_f32 v7, v5, v8, -v6
	v_cvt_f64_f32_e32 v[5:6], v13
	v_cvt_f64_f32_e32 v[7:8], v7
	v_mul_f64 v[5:6], v[5:6], s[2:3]
	v_mul_f64 v[7:8], v[7:8], s[2:3]
	v_cvt_f32_f64_e32 v5, v[5:6]
	v_cvt_f32_f64_e32 v6, v[7:8]
	v_add_co_u32_e32 v7, vcc, v3, v9
	v_addc_co_u32_e32 v8, vcc, v4, v10, vcc
	global_store_dwordx2 v[7:8], v[5:6], off
	global_load_dwordx2 v[9:10], v[104:105], off offset:1480
	ds_read2_b64 v[5:8], v168 offset0:185 offset1:206
	v_add_co_u32_e32 v0, vcc, s0, v0
	s_waitcnt vmcnt(0) lgkmcnt(0)
	v_mul_f32_e32 v11, v6, v10
	v_mul_f32_e32 v10, v5, v10
	v_fmac_f32_e32 v11, v5, v9
	v_fma_f32 v9, v9, v6, -v10
	v_cvt_f64_f32_e32 v[5:6], v11
	v_cvt_f64_f32_e32 v[9:10], v9
	v_mov_b32_e32 v11, s1
	v_addc_co_u32_e32 v1, vcc, v1, v11, vcc
	v_mul_f64 v[5:6], v[5:6], s[2:3]
	v_mul_f64 v[9:10], v[9:10], s[2:3]
	v_cvt_f32_f64_e32 v5, v[5:6]
	v_cvt_f32_f64_e32 v6, v[9:10]
	global_store_dwordx2 v[0:1], v[5:6], off
	global_load_dwordx2 v[5:6], v[104:105], off offset:1648
	v_add_co_u32_e32 v0, vcc, s4, v0
	v_addc_co_u32_e32 v1, vcc, v1, v12, vcc
	s_waitcnt vmcnt(0)
	v_mul_f32_e32 v9, v8, v6
	v_mul_f32_e32 v6, v7, v6
	v_fmac_f32_e32 v9, v7, v5
	v_fma_f32 v7, v5, v8, -v6
	v_cvt_f64_f32_e32 v[5:6], v9
	v_cvt_f64_f32_e32 v[7:8], v7
	v_mul_f64 v[5:6], v[5:6], s[2:3]
	v_mul_f64 v[7:8], v[7:8], s[2:3]
	v_cvt_f32_f64_e32 v5, v[5:6]
	v_cvt_f32_f64_e32 v6, v[7:8]
	global_store_dwordx2 v[0:1], v[5:6], off
	global_load_dwordx2 v[9:10], v[104:105], off offset:1816
	ds_read2_b64 v[5:8], v168 offset0:227 offset1:248
	v_add_co_u32_e32 v0, vcc, s4, v0
	v_addc_co_u32_e32 v1, vcc, v1, v12, vcc
	s_waitcnt vmcnt(0) lgkmcnt(0)
	v_mul_f32_e32 v11, v6, v10
	v_mul_f32_e32 v10, v5, v10
	v_fmac_f32_e32 v11, v5, v9
	v_fma_f32 v9, v9, v6, -v10
	v_cvt_f64_f32_e32 v[5:6], v11
	v_cvt_f64_f32_e32 v[9:10], v9
	v_or_b32_e32 v11, 0xf8, v107
	v_mul_f64 v[5:6], v[5:6], s[2:3]
	v_mul_f64 v[9:10], v[9:10], s[2:3]
	v_cvt_f32_f64_e32 v5, v[5:6]
	v_cvt_f32_f64_e32 v6, v[9:10]
	v_mad_u64_u32 v[9:10], s[6:7], s8, v11, 0
	global_store_dwordx2 v[0:1], v[5:6], off
	global_load_dwordx2 v[5:6], v[104:105], off offset:1984
	v_mad_u64_u32 v[10:11], s[6:7], s9, v11, v[10:11]
	v_lshlrev_b64 v[9:10], 3, v[9:10]
	s_waitcnt vmcnt(0)
	v_mul_f32_e32 v13, v8, v6
	v_mul_f32_e32 v6, v7, v6
	v_fmac_f32_e32 v13, v7, v5
	v_fma_f32 v7, v5, v8, -v6
	v_cvt_f64_f32_e32 v[5:6], v13
	v_cvt_f64_f32_e32 v[7:8], v7
	v_mul_f64 v[5:6], v[5:6], s[2:3]
	v_mul_f64 v[7:8], v[7:8], s[2:3]
	v_cvt_f32_f64_e32 v5, v[5:6]
	v_cvt_f32_f64_e32 v6, v[7:8]
	v_add_co_u32_e32 v7, vcc, v3, v9
	v_addc_co_u32_e32 v8, vcc, v4, v10, vcc
	global_store_dwordx2 v[7:8], v[5:6], off
	global_load_dwordx2 v[9:10], v[104:105], off offset:2152
	ds_read2_b64 v[5:8], v2 offset0:13 offset1:34
	v_add_co_u32_e32 v0, vcc, s0, v0
	s_waitcnt vmcnt(0) lgkmcnt(0)
	v_mul_f32_e32 v11, v6, v10
	v_mul_f32_e32 v10, v5, v10
	v_fmac_f32_e32 v11, v5, v9
	v_fma_f32 v9, v9, v6, -v10
	v_cvt_f64_f32_e32 v[5:6], v11
	v_cvt_f64_f32_e32 v[9:10], v9
	v_mov_b32_e32 v11, s1
	v_addc_co_u32_e32 v1, vcc, v1, v11, vcc
	v_mul_f64 v[5:6], v[5:6], s[2:3]
	v_mul_f64 v[9:10], v[9:10], s[2:3]
	v_or_b32_e32 v11, 0x14c, v107
	v_cvt_f32_f64_e32 v5, v[5:6]
	v_cvt_f32_f64_e32 v6, v[9:10]
	global_store_dwordx2 v[0:1], v[5:6], off
	global_load_dwordx2 v[5:6], v[104:105], off offset:2320
	v_add_co_u32_e32 v0, vcc, s4, v0
	v_addc_co_u32_e32 v1, vcc, v1, v12, vcc
	s_waitcnt vmcnt(0)
	v_mul_f32_e32 v9, v8, v6
	v_mul_f32_e32 v6, v7, v6
	v_fmac_f32_e32 v9, v7, v5
	v_fma_f32 v7, v5, v8, -v6
	v_cvt_f64_f32_e32 v[5:6], v9
	v_cvt_f64_f32_e32 v[7:8], v7
	v_mul_f64 v[5:6], v[5:6], s[2:3]
	v_mul_f64 v[7:8], v[7:8], s[2:3]
	v_cvt_f32_f64_e32 v5, v[5:6]
	v_cvt_f32_f64_e32 v6, v[7:8]
	global_store_dwordx2 v[0:1], v[5:6], off
	global_load_dwordx2 v[9:10], v[104:105], off offset:2488
	ds_read2_b64 v[5:8], v2 offset0:55 offset1:76
	v_add_co_u32_e32 v0, vcc, s4, v0
	v_addc_co_u32_e32 v1, vcc, v1, v12, vcc
	s_waitcnt vmcnt(0) lgkmcnt(0)
	v_mul_f32_e32 v2, v6, v10
	v_mul_f32_e32 v10, v5, v10
	v_fmac_f32_e32 v2, v5, v9
	v_fma_f32 v9, v9, v6, -v10
	v_cvt_f64_f32_e32 v[5:6], v2
	v_cvt_f64_f32_e32 v[9:10], v9
	v_mul_f64 v[5:6], v[5:6], s[2:3]
	v_mul_f64 v[9:10], v[9:10], s[2:3]
	v_cvt_f32_f64_e32 v5, v[5:6]
	v_cvt_f32_f64_e32 v6, v[9:10]
	v_mad_u64_u32 v[9:10], s[4:5], s8, v11, 0
	global_store_dwordx2 v[0:1], v[5:6], off
	global_load_dwordx2 v[5:6], v[104:105], off offset:2656
	s_waitcnt vmcnt(0)
	v_mul_f32_e32 v2, v8, v6
	v_mul_f32_e32 v6, v7, v6
	v_fmac_f32_e32 v2, v7, v5
	v_fma_f32 v7, v5, v8, -v6
	v_cvt_f64_f32_e32 v[5:6], v2
	v_cvt_f64_f32_e32 v[7:8], v7
	v_mov_b32_e32 v2, v10
	v_mad_u64_u32 v[10:11], s[4:5], s9, v11, v[2:3]
	v_mul_f64 v[5:6], v[5:6], s[2:3]
	v_mul_f64 v[7:8], v[7:8], s[2:3]
	v_lshlrev_b64 v[9:10], 3, v[9:10]
	v_add_co_u32_e32 v2, vcc, v3, v9
	v_addc_co_u32_e32 v3, vcc, v4, v10, vcc
	v_cvt_f32_f64_e32 v5, v[5:6]
	v_cvt_f32_f64_e32 v6, v[7:8]
	v_add_co_u32_e32 v0, vcc, s0, v0
	global_store_dwordx2 v[2:3], v[5:6], off
	global_load_dwordx2 v[2:3], v[104:105], off offset:2824
	ds_read_b64 v[4:5], v168 offset:2824
	s_waitcnt vmcnt(0) lgkmcnt(0)
	v_mul_f32_e32 v6, v5, v3
	v_mul_f32_e32 v3, v4, v3
	v_fmac_f32_e32 v6, v4, v2
	v_fma_f32 v4, v2, v5, -v3
	v_cvt_f64_f32_e32 v[2:3], v6
	v_cvt_f64_f32_e32 v[4:5], v4
	v_mov_b32_e32 v6, s1
	v_addc_co_u32_e32 v1, vcc, v1, v6, vcc
	v_mul_f64 v[2:3], v[2:3], s[2:3]
	v_mul_f64 v[4:5], v[4:5], s[2:3]
	v_cvt_f32_f64_e32 v2, v[2:3]
	v_cvt_f32_f64_e32 v3, v[4:5]
	global_store_dwordx2 v[0:1], v[2:3], off
.LBB0_15:
	s_endpgm
	.section	.rodata,"a",@progbits
	.p2align	6, 0x0
	.amdhsa_kernel bluestein_single_fwd_len357_dim1_sp_op_CI_CI
		.amdhsa_group_segment_fixed_size 31416
		.amdhsa_private_segment_fixed_size 200
		.amdhsa_kernarg_size 104
		.amdhsa_user_sgpr_count 6
		.amdhsa_user_sgpr_private_segment_buffer 1
		.amdhsa_user_sgpr_dispatch_ptr 0
		.amdhsa_user_sgpr_queue_ptr 0
		.amdhsa_user_sgpr_kernarg_segment_ptr 1
		.amdhsa_user_sgpr_dispatch_id 0
		.amdhsa_user_sgpr_flat_scratch_init 0
		.amdhsa_user_sgpr_private_segment_size 0
		.amdhsa_uses_dynamic_stack 0
		.amdhsa_system_sgpr_private_segment_wavefront_offset 1
		.amdhsa_system_sgpr_workgroup_id_x 1
		.amdhsa_system_sgpr_workgroup_id_y 0
		.amdhsa_system_sgpr_workgroup_id_z 0
		.amdhsa_system_sgpr_workgroup_info 0
		.amdhsa_system_vgpr_workitem_id 0
		.amdhsa_next_free_vgpr 256
		.amdhsa_next_free_sgpr 24
		.amdhsa_reserve_vcc 1
		.amdhsa_reserve_flat_scratch 0
		.amdhsa_float_round_mode_32 0
		.amdhsa_float_round_mode_16_64 0
		.amdhsa_float_denorm_mode_32 3
		.amdhsa_float_denorm_mode_16_64 3
		.amdhsa_dx10_clamp 1
		.amdhsa_ieee_mode 1
		.amdhsa_fp16_overflow 0
		.amdhsa_exception_fp_ieee_invalid_op 0
		.amdhsa_exception_fp_denorm_src 0
		.amdhsa_exception_fp_ieee_div_zero 0
		.amdhsa_exception_fp_ieee_overflow 0
		.amdhsa_exception_fp_ieee_underflow 0
		.amdhsa_exception_fp_ieee_inexact 0
		.amdhsa_exception_int_div_zero 0
	.end_amdhsa_kernel
	.text
.Lfunc_end0:
	.size	bluestein_single_fwd_len357_dim1_sp_op_CI_CI, .Lfunc_end0-bluestein_single_fwd_len357_dim1_sp_op_CI_CI
                                        ; -- End function
	.section	.AMDGPU.csdata,"",@progbits
; Kernel info:
; codeLenInByte = 34812
; NumSgprs: 28
; NumVgprs: 256
; ScratchSize: 200
; MemoryBound: 0
; FloatMode: 240
; IeeeMode: 1
; LDSByteSize: 31416 bytes/workgroup (compile time only)
; SGPRBlocks: 3
; VGPRBlocks: 63
; NumSGPRsForWavesPerEU: 28
; NumVGPRsForWavesPerEU: 256
; Occupancy: 1
; WaveLimiterHint : 1
; COMPUTE_PGM_RSRC2:SCRATCH_EN: 1
; COMPUTE_PGM_RSRC2:USER_SGPR: 6
; COMPUTE_PGM_RSRC2:TRAP_HANDLER: 0
; COMPUTE_PGM_RSRC2:TGID_X_EN: 1
; COMPUTE_PGM_RSRC2:TGID_Y_EN: 0
; COMPUTE_PGM_RSRC2:TGID_Z_EN: 0
; COMPUTE_PGM_RSRC2:TIDIG_COMP_CNT: 0
	.type	__hip_cuid_b6fac52a20a35023,@object ; @__hip_cuid_b6fac52a20a35023
	.section	.bss,"aw",@nobits
	.globl	__hip_cuid_b6fac52a20a35023
__hip_cuid_b6fac52a20a35023:
	.byte	0                               ; 0x0
	.size	__hip_cuid_b6fac52a20a35023, 1

	.ident	"AMD clang version 19.0.0git (https://github.com/RadeonOpenCompute/llvm-project roc-6.4.0 25133 c7fe45cf4b819c5991fe208aaa96edf142730f1d)"
	.section	".note.GNU-stack","",@progbits
	.addrsig
	.addrsig_sym __hip_cuid_b6fac52a20a35023
	.amdgpu_metadata
---
amdhsa.kernels:
  - .args:
      - .actual_access:  read_only
        .address_space:  global
        .offset:         0
        .size:           8
        .value_kind:     global_buffer
      - .actual_access:  read_only
        .address_space:  global
        .offset:         8
        .size:           8
        .value_kind:     global_buffer
      - .actual_access:  read_only
        .address_space:  global
        .offset:         16
        .size:           8
        .value_kind:     global_buffer
      - .actual_access:  read_only
        .address_space:  global
        .offset:         24
        .size:           8
        .value_kind:     global_buffer
      - .actual_access:  read_only
        .address_space:  global
        .offset:         32
        .size:           8
        .value_kind:     global_buffer
      - .offset:         40
        .size:           8
        .value_kind:     by_value
      - .address_space:  global
        .offset:         48
        .size:           8
        .value_kind:     global_buffer
      - .address_space:  global
        .offset:         56
        .size:           8
        .value_kind:     global_buffer
      - .address_space:  global
        .offset:         64
        .size:           8
        .value_kind:     global_buffer
      - .address_space:  global
        .offset:         72
        .size:           8
        .value_kind:     global_buffer
      - .offset:         80
        .size:           4
        .value_kind:     by_value
      - .address_space:  global
        .offset:         88
        .size:           8
        .value_kind:     global_buffer
      - .address_space:  global
        .offset:         96
        .size:           8
        .value_kind:     global_buffer
    .group_segment_fixed_size: 31416
    .kernarg_segment_align: 8
    .kernarg_segment_size: 104
    .language:       OpenCL C
    .language_version:
      - 2
      - 0
    .max_flat_workgroup_size: 187
    .name:           bluestein_single_fwd_len357_dim1_sp_op_CI_CI
    .private_segment_fixed_size: 200
    .sgpr_count:     28
    .sgpr_spill_count: 0
    .symbol:         bluestein_single_fwd_len357_dim1_sp_op_CI_CI.kd
    .uniform_work_group_size: 1
    .uses_dynamic_stack: false
    .vgpr_count:     256
    .vgpr_spill_count: 49
    .wavefront_size: 64
amdhsa.target:   amdgcn-amd-amdhsa--gfx906
amdhsa.version:
  - 1
  - 2
...

	.end_amdgpu_metadata
